;; amdgpu-corpus repo=ROCm/rocFFT kind=compiled arch=gfx1100 opt=O3
	.text
	.amdgcn_target "amdgcn-amd-amdhsa--gfx1100"
	.amdhsa_code_object_version 6
	.protected	bluestein_single_back_len1089_dim1_dp_op_CI_CI ; -- Begin function bluestein_single_back_len1089_dim1_dp_op_CI_CI
	.globl	bluestein_single_back_len1089_dim1_dp_op_CI_CI
	.p2align	8
	.type	bluestein_single_back_len1089_dim1_dp_op_CI_CI,@function
bluestein_single_back_len1089_dim1_dp_op_CI_CI: ; @bluestein_single_back_len1089_dim1_dp_op_CI_CI
; %bb.0:
	s_load_b128 s[16:19], s[0:1], 0x28
	v_mul_u32_u24_e32 v1, 0x21e, v0
	s_mov_b32 s2, exec_lo
	v_mov_b32_e32 v8, 0
	s_delay_alu instid0(VALU_DEP_2) | instskip(NEXT) | instid1(VALU_DEP_1)
	v_lshrrev_b32_e32 v1, 16, v1
	v_add_nc_u32_e32 v7, s15, v1
	s_waitcnt lgkmcnt(0)
	s_delay_alu instid0(VALU_DEP_1)
	v_cmpx_gt_u64_e64 s[16:17], v[7:8]
	s_cbranch_execz .LBB0_18
; %bb.1:
	s_clause 0x1
	s_load_b128 s[4:7], s[0:1], 0x18
	s_load_b128 s[8:11], s[0:1], 0x0
	v_mul_lo_u16 v1, 0x79, v1
                                        ; implicit-def: $vgpr112_vgpr113
                                        ; implicit-def: $vgpr116_vgpr117
	v_mov_b32_e32 v5, v7
	s_delay_alu instid0(VALU_DEP_2) | instskip(SKIP_2) | instid1(VALU_DEP_1)
	v_sub_nc_u16 v0, v0, v1
	scratch_store_b64 off, v[5:6], off      ; 8-byte Folded Spill
	v_and_b32_e32 v18, 0xffff, v0
	v_lshlrev_b32_e32 v19, 4, v18
	s_waitcnt lgkmcnt(0)
	s_load_b128 s[12:15], s[4:5], 0x0
	s_clause 0x2
	global_load_b128 v[20:23], v19, s[8:9]
	global_load_b128 v[24:27], v19, s[8:9] offset:1936
	global_load_b128 v[92:95], v19, s[8:9] offset:3872
	s_waitcnt lgkmcnt(0)
	v_mad_u64_u32 v[1:2], null, s14, v7, 0
	v_mad_u64_u32 v[3:4], null, s12, v18, 0
	s_mul_i32 s3, s13, 0x16b0
	s_mul_hi_u32 s4, s12, 0x16b0
	s_mul_i32 s2, s12, 0x16b0
	s_add_i32 s3, s4, s3
	s_delay_alu instid0(VALU_DEP_1) | instskip(NEXT) | instid1(VALU_DEP_1)
	v_mad_u64_u32 v[5:6], null, s15, v7, v[2:3]
	v_mov_b32_e32 v2, v5
	s_delay_alu instid0(VALU_DEP_3) | instskip(SKIP_1) | instid1(VALU_DEP_1)
	v_mad_u64_u32 v[6:7], null, s13, v18, v[4:5]
	v_add_co_u32 v7, s4, s8, v19
	v_add_co_ci_u32_e64 v8, null, s9, 0, s4
	s_mul_i32 s4, s13, 0xffffda30
	v_lshlrev_b64 v[1:2], 4, v[1:2]
	s_sub_i32 s4, s4, s12
	s_delay_alu instid0(VALU_DEP_4) | instskip(SKIP_1) | instid1(VALU_DEP_2)
	v_mov_b32_e32 v4, v6
	s_mov_b32 s13, 0xbfebb67a
	v_add_co_u32 v1, vcc_lo, s18, v1
	s_delay_alu instid0(VALU_DEP_2) | instskip(SKIP_1) | instid1(VALU_DEP_2)
	v_lshlrev_b64 v[3:4], 4, v[3:4]
	v_add_co_ci_u32_e32 v2, vcc_lo, s19, v2, vcc_lo
	v_add_co_u32 v1, vcc_lo, v1, v3
	s_delay_alu instid0(VALU_DEP_2) | instskip(NEXT) | instid1(VALU_DEP_2)
	v_add_co_ci_u32_e32 v2, vcc_lo, v2, v4, vcc_lo
	v_add_co_u32 v5, vcc_lo, v1, s2
	s_delay_alu instid0(VALU_DEP_2) | instskip(NEXT) | instid1(VALU_DEP_2)
	v_add_co_ci_u32_e32 v6, vcc_lo, s3, v2, vcc_lo
	v_add_co_u32 v9, vcc_lo, v5, s2
	s_delay_alu instid0(VALU_DEP_2) | instskip(SKIP_2) | instid1(VALU_DEP_3)
	v_add_co_ci_u32_e32 v10, vcc_lo, s3, v6, vcc_lo
	v_add_co_u32 v3, vcc_lo, 0x1000, v7
	v_add_co_ci_u32_e32 v4, vcc_lo, 0, v8, vcc_lo
	v_mad_u64_u32 v[13:14], null, 0xffffda30, s12, v[9:10]
	s_delay_alu instid0(VALU_DEP_1) | instskip(NEXT) | instid1(VALU_DEP_2)
	v_add_nc_u32_e32 v14, s4, v14
	v_add_co_u32 v28, vcc_lo, v13, s2
	s_delay_alu instid0(VALU_DEP_2) | instskip(SKIP_2) | instid1(VALU_DEP_4)
	v_add_co_ci_u32_e32 v29, vcc_lo, s3, v14, vcc_lo
	v_add_co_u32 v30, vcc_lo, 0x2000, v7
	v_add_co_ci_u32_e32 v31, vcc_lo, 0, v8, vcc_lo
	v_add_co_u32 v32, vcc_lo, v28, s2
	s_delay_alu instid0(VALU_DEP_4) | instskip(SKIP_2) | instid1(VALU_DEP_3)
	v_add_co_ci_u32_e32 v33, vcc_lo, s3, v29, vcc_lo
	v_add_co_u32 v34, vcc_lo, 0x3000, v7
	v_add_co_ci_u32_e32 v35, vcc_lo, 0, v8, vcc_lo
	v_mad_u64_u32 v[44:45], null, 0xffffda30, s12, v[32:33]
	s_clause 0x3
	global_load_b128 v[104:107], v[30:31], off offset:3424
	global_load_b128 v[108:111], v[3:4], off offset:1712
	;; [unrolled: 1-line block ×4, first 2 shown]
	s_clause 0x3
	global_load_b128 v[1:4], v[1:2], off
	global_load_b128 v[5:8], v[5:6], off
	;; [unrolled: 1-line block ×6, first 2 shown]
	v_add_nc_u32_e32 v45, s4, v45
	v_add_co_u32 v48, vcc_lo, v44, s2
	s_delay_alu instid0(VALU_DEP_2) | instskip(NEXT) | instid1(VALU_DEP_2)
	v_add_co_ci_u32_e32 v49, vcc_lo, s3, v45, vcc_lo
	v_add_co_u32 v52, vcc_lo, v48, s2
	s_delay_alu instid0(VALU_DEP_2)
	v_add_co_ci_u32_e32 v53, vcc_lo, s3, v49, vcc_lo
	global_load_b128 v[44:47], v[44:45], off
	global_load_b128 v[28:31], v[30:31], off offset:1488
	global_load_b128 v[48:51], v[48:49], off
	global_load_b128 v[32:35], v[34:35], off offset:3200
	global_load_b128 v[52:55], v[52:53], off
	s_load_b128 s[4:7], s[6:7], 0x0
	s_mov_b32 s2, 0xe8584caa
	s_mov_b32 s3, 0x3febb67a
	;; [unrolled: 1-line block ×3, first 2 shown]
	v_cmp_gt_u16_e32 vcc_lo, 0x63, v0
	s_waitcnt vmcnt(17)
	scratch_store_b128 off, v[20:23], off offset:8 ; 16-byte Folded Spill
	s_waitcnt vmcnt(16)
	scratch_store_b128 off, v[24:27], off offset:24 ; 16-byte Folded Spill
	s_waitcnt vmcnt(15)
	scratch_store_b128 off, v[92:95], off offset:40 ; 16-byte Folded Spill
	s_waitcnt vmcnt(13)
	scratch_store_b128 off, v[108:111], off offset:104 ; 16-byte Folded Spill
	s_waitcnt vmcnt(12)
	scratch_store_b128 off, v[100:103], off offset:72 ; 16-byte Folded Spill
	s_waitcnt vmcnt(11)
	scratch_store_b128 off, v[96:99], off offset:56 ; 16-byte Folded Spill
	s_waitcnt vmcnt(10)
	v_mul_f64 v[56:57], v[3:4], v[22:23]
	v_mul_f64 v[58:59], v[1:2], v[22:23]
	s_waitcnt vmcnt(8)
	v_mul_f64 v[64:65], v[11:12], v[106:107]
	s_waitcnt vmcnt(7)
	v_mul_f64 v[68:69], v[15:16], v[26:27]
	v_mul_f64 v[70:71], v[13:14], v[26:27]
	;; [unrolled: 1-line block ×3, first 2 shown]
	s_waitcnt vmcnt(6)
	v_mul_f64 v[76:77], v[42:43], v[98:99]
	v_mul_f64 v[78:79], v[40:41], v[98:99]
	;; [unrolled: 1-line block ×4, first 2 shown]
	s_waitcnt vmcnt(5)
	v_mul_f64 v[72:73], v[38:39], v[102:103]
	v_mul_f64 v[74:75], v[36:37], v[102:103]
	scratch_store_b128 off, v[104:107], off offset:88 ; 16-byte Folded Spill
	s_waitcnt vmcnt(4)
	v_mul_f64 v[80:81], v[46:47], v[94:95]
	v_mul_f64 v[82:83], v[44:45], v[94:95]
	s_waitcnt vmcnt(2)
	v_mul_f64 v[84:85], v[50:51], v[30:31]
	v_mul_f64 v[86:87], v[48:49], v[30:31]
	;; [unrolled: 3-line block ×3, first 2 shown]
	s_clause 0x1
	scratch_store_b128 off, v[28:31], off offset:120
	scratch_store_b128 off, v[32:35], off offset:136
	v_fma_f64 v[1:2], v[1:2], v[20:21], v[56:57]
	v_fma_f64 v[3:4], v[3:4], v[20:21], -v[58:59]
	v_fma_f64 v[9:10], v[9:10], v[104:105], v[64:65]
	v_fma_f64 v[13:14], v[13:14], v[24:25], v[68:69]
	v_fma_f64 v[15:16], v[15:16], v[24:25], -v[70:71]
	v_fma_f64 v[11:12], v[11:12], v[104:105], -v[66:67]
	v_fma_f64 v[40:41], v[40:41], v[96:97], v[76:77]
	v_fma_f64 v[42:43], v[42:43], v[96:97], -v[78:79]
	v_fma_f64 v[5:6], v[5:6], v[108:109], v[60:61]
	;; [unrolled: 2-line block ×6, first 2 shown]
	v_fma_f64 v[54:55], v[54:55], v[32:33], -v[90:91]
	ds_store_b128 v19, v[1:4]
	ds_store_b128 v19, v[13:16] offset:1936
	ds_store_b128 v19, v[9:12] offset:11616
	;; [unrolled: 1-line block ×8, first 2 shown]
	s_waitcnt lgkmcnt(0)
	s_waitcnt_vscnt null, 0x0
	s_barrier
	buffer_gl0_inv
	ds_load_b128 v[1:4], v19 offset:5808
	ds_load_b128 v[5:8], v19 offset:11616
	;; [unrolled: 1-line block ×7, first 2 shown]
	ds_load_b128 v[48:51], v19
	ds_load_b128 v[52:55], v19 offset:1936
	s_waitcnt lgkmcnt(0)
	s_barrier
	buffer_gl0_inv
	v_add_f64 v[56:57], v[1:2], v[5:6]
	v_add_f64 v[58:59], v[3:4], v[7:8]
	;; [unrolled: 1-line block ×7, first 2 shown]
	v_add_f64 v[70:71], v[3:4], -v[7:8]
	v_add_f64 v[3:4], v[50:51], v[3:4]
	v_add_f64 v[76:77], v[52:53], v[13:14]
	;; [unrolled: 1-line block ×5, first 2 shown]
	v_add_f64 v[1:2], v[1:2], -v[5:6]
	v_add_f64 v[15:16], v[15:16], -v[11:12]
	;; [unrolled: 1-line block ×5, first 2 shown]
	v_fma_f64 v[48:49], v[56:57], -0.5, v[48:49]
	v_fma_f64 v[50:51], v[58:59], -0.5, v[50:51]
	;; [unrolled: 1-line block ×6, first 2 shown]
	v_add_f64 v[72:73], v[68:69], v[5:6]
	v_add_f64 v[74:75], v[3:4], v[7:8]
	;; [unrolled: 1-line block ×6, first 2 shown]
	v_fma_f64 v[100:101], v[70:71], s[2:3], v[48:49]
	v_fma_f64 v[104:105], v[70:71], s[12:13], v[48:49]
	;; [unrolled: 1-line block ×12, first 2 shown]
	s_load_b64 s[2:3], s[0:1], 0x38
	v_add_co_u32 v8, s0, 0x79, v18
	v_mul_lo_u16 v1, v0, 3
	v_add_co_ci_u32_e64 v2, null, 0, 0, s0
	v_add_co_u32 v9, s0, 0xf2, v18
	s_delay_alu instid0(VALU_DEP_3) | instskip(SKIP_2) | instid1(VALU_DEP_4)
	v_and_b32_e32 v3, 0xffff, v1
	v_mul_u32_u24_e32 v4, 3, v8
	v_add_co_ci_u32_e64 v2, null, 0, 0, s0
	v_mul_u32_u24_e32 v5, 3, v9
	s_delay_alu instid0(VALU_DEP_4) | instskip(NEXT) | instid1(VALU_DEP_4)
	v_lshlrev_b32_e32 v2, 4, v3
	v_lshlrev_b32_e32 v1, 4, v4
	ds_store_b128 v2, v[72:75]
	ds_store_b128 v2, v[100:103] offset:16
	v_lshlrev_b32_e32 v0, 4, v5
	scratch_store_b32 off, v2, off offset:168 ; 4-byte Folded Spill
	ds_store_b128 v2, v[104:107] offset:32
	ds_store_b128 v1, v[96:99]
	ds_store_b128 v1, v[88:91] offset:16
	scratch_store_b32 off, v1, off offset:164 ; 4-byte Folded Spill
	ds_store_b128 v1, v[80:83] offset:32
	ds_store_b128 v0, v[84:87]
	ds_store_b128 v0, v[92:95] offset:16
	scratch_store_b32 off, v0, off offset:160 ; 4-byte Folded Spill
	ds_store_b128 v0, v[108:111] offset:32
	s_waitcnt lgkmcnt(0)
	s_waitcnt_vscnt null, 0x0
	s_barrier
	buffer_gl0_inv
	s_and_saveexec_b32 s0, vcc_lo
	s_cbranch_execz .LBB0_3
; %bb.2:
	ds_load_b128 v[72:75], v19
	ds_load_b128 v[100:103], v19 offset:1584
	ds_load_b128 v[104:107], v19 offset:3168
	;; [unrolled: 1-line block ×10, first 2 shown]
.LBB0_3:
	s_or_b32 exec_lo, exec_lo, s0
	v_and_b32_e32 v10, 0xff, v18
	s_mov_b32 s12, 0xf8bb580b
	s_mov_b32 s0, 0x8eee2c13
	s_mov_b32 s13, 0xbfe14ced
	s_mov_b32 s1, 0xbfed1bb4
	v_mul_lo_u16 v0, 0xab, v10
	s_mov_b32 s16, 0x8764f0ba
	s_mov_b32 s14, 0xd9c712b6
	;; [unrolled: 1-line block ×4, first 2 shown]
	v_lshrrev_b16 v17, 9, v0
	s_mov_b32 s15, 0x3fda9628
	s_mov_b32 s21, 0xbfe82f19
	s_mov_b32 s18, 0x7f775887
	s_mov_b32 s22, 0x43842ef
	v_mul_lo_u16 v0, v17, 3
	s_mov_b32 s26, 0xfd768dbf
	s_mov_b32 s19, 0xbfe4f49e
	;; [unrolled: 1-line block ×4, first 2 shown]
	v_sub_nc_u16 v0, v18, v0
	s_mov_b32 s28, 0x640f44db
	s_mov_b32 s24, 0x9bcd5057
	;; [unrolled: 1-line block ×4, first 2 shown]
	v_and_b32_e32 v0, 0xff, v0
	s_mov_b32 s37, 0x3fefac9e
	s_mov_b32 s36, s22
	;; [unrolled: 1-line block ×4, first 2 shown]
	scratch_store_b32 off, v0, off offset:152 ; 4-byte Folded Spill
	v_mul_u32_u24_e32 v0, 10, v0
	s_mov_b32 s30, s26
	s_mov_b32 s34, s12
	s_delay_alu instid0(VALU_DEP_1)
	v_lshlrev_b32_e32 v0, 4, v0
	s_clause 0x9
	global_load_b128 v[52:55], v0, s[10:11]
	global_load_b128 v[76:79], v0, s[10:11] offset:144
	global_load_b128 v[64:67], v0, s[10:11] offset:16
	;; [unrolled: 1-line block ×9, first 2 shown]
	s_waitcnt vmcnt(9) lgkmcnt(9)
	v_mul_f64 v[0:1], v[102:103], v[54:55]
	v_mul_f64 v[2:3], v[100:101], v[54:55]
	s_waitcnt vmcnt(8) lgkmcnt(0)
	v_mul_f64 v[4:5], v[116:117], v[78:79]
	v_mul_f64 v[6:7], v[118:119], v[78:79]
	s_waitcnt vmcnt(7)
	v_mul_f64 v[11:12], v[106:107], v[66:67]
	v_mul_f64 v[13:14], v[104:105], v[66:67]
	s_waitcnt vmcnt(6)
	;; [unrolled: 3-line block ×3, first 2 shown]
	v_mul_f64 v[122:123], v[86:87], v[38:39]
	v_mul_f64 v[140:141], v[84:85], v[38:39]
	v_fma_f64 v[182:183], v[100:101], v[52:53], -v[0:1]
	v_fma_f64 v[185:186], v[102:103], v[52:53], v[2:3]
	v_fma_f64 v[102:103], v[118:119], v[76:77], v[4:5]
	v_fma_f64 v[100:101], v[116:117], v[76:77], -v[6:7]
	v_mul_f64 v[0:1], v[98:99], v[62:63]
	v_mul_f64 v[2:3], v[96:97], v[62:63]
	;; [unrolled: 1-line block ×4, first 2 shown]
	v_fma_f64 v[124:125], v[104:105], v[64:65], -v[11:12]
	v_fma_f64 v[126:127], v[106:107], v[64:65], v[13:14]
	v_fma_f64 v[106:107], v[114:115], v[68:69], v[15:16]
	v_fma_f64 v[104:105], v[112:113], v[68:69], -v[120:121]
	v_mul_f64 v[11:12], v[90:91], v[50:51]
	v_mul_f64 v[13:14], v[88:89], v[50:51]
	v_mul_f64 v[15:16], v[94:95], v[46:47]
	v_mul_f64 v[116:117], v[92:93], v[46:47]
	v_mul_f64 v[118:119], v[82:83], v[42:43]
	v_mul_f64 v[120:121], v[80:81], v[42:43]
	v_add_f64 v[193:194], v[185:186], -v[102:103]
	v_add_f64 v[195:196], v[182:183], -v[100:101]
	v_fma_f64 v[112:113], v[96:97], v[60:61], -v[0:1]
	v_fma_f64 v[114:115], v[98:99], v[60:61], v[2:3]
	v_fma_f64 v[98:99], v[110:111], v[56:57], v[4:5]
	v_fma_f64 v[96:97], v[108:109], v[56:57], -v[6:7]
	v_add_f64 v[2:3], v[182:183], v[100:101]
	v_add_f64 v[4:5], v[185:186], v[102:103]
	v_add_f64 v[136:137], v[126:127], -v[106:107]
	v_add_f64 v[128:129], v[124:125], -v[104:105]
	v_fma_f64 v[108:109], v[88:89], v[48:49], -v[11:12]
	v_fma_f64 v[110:111], v[90:91], v[48:49], v[13:14]
	v_fma_f64 v[88:89], v[92:93], v[44:45], -v[15:16]
	v_fma_f64 v[90:91], v[94:95], v[44:45], v[116:117]
	v_add_f64 v[94:95], v[124:125], v[104:105]
	v_add_f64 v[132:133], v[126:127], v[106:107]
	v_fma_f64 v[80:81], v[80:81], v[40:41], -v[118:119]
	v_fma_f64 v[92:93], v[82:83], v[40:41], v[120:121]
	v_fma_f64 v[82:83], v[84:85], v[36:37], -v[122:123]
	v_fma_f64 v[84:85], v[86:87], v[36:37], v[140:141]
	v_mul_f64 v[0:1], v[193:194], s[12:13]
	v_mul_f64 v[6:7], v[195:196], s[12:13]
	;; [unrolled: 1-line block ×4, first 2 shown]
	v_add_f64 v[142:143], v[114:115], -v[98:99]
	v_add_f64 v[138:139], v[112:113], -v[96:97]
	v_add_f64 v[86:87], v[112:113], v[96:97]
	v_add_f64 v[140:141], v[114:115], v[98:99]
	v_mul_f64 v[130:131], v[136:137], s[0:1]
	v_mul_f64 v[134:135], v[128:129], s[0:1]
	;; [unrolled: 1-line block ×4, first 2 shown]
	v_add_f64 v[150:151], v[108:109], -v[88:89]
	v_add_f64 v[158:159], v[110:111], -v[90:91]
	v_add_f64 v[148:149], v[108:109], v[88:89]
	v_add_f64 v[152:153], v[110:111], v[90:91]
	v_add_f64 v[166:167], v[80:81], -v[82:83]
	v_add_f64 v[174:175], v[92:93], -v[84:85]
	v_add_f64 v[164:165], v[92:93], v[84:85]
	v_fma_f64 v[11:12], v[2:3], s[16:17], v[0:1]
	v_fma_f64 v[13:14], v[4:5], s[16:17], -v[6:7]
	v_fma_f64 v[15:16], v[2:3], s[14:15], v[197:198]
	v_fma_f64 v[116:117], v[4:5], s[14:15], -v[199:200]
	v_mul_f64 v[144:145], v[142:143], s[22:23]
	v_mul_f64 v[146:147], v[138:139], s[22:23]
	v_mul_f64 v[176:177], v[142:143], s[26:27]
	v_mul_f64 v[178:179], v[138:139], s[26:27]
	v_fma_f64 v[118:119], v[94:95], s[14:15], v[130:131]
	v_fma_f64 v[120:121], v[132:133], s[14:15], -v[134:135]
	v_fma_f64 v[122:123], v[94:95], s[18:19], v[170:171]
	v_fma_f64 v[160:161], v[132:133], s[18:19], -v[172:173]
	v_mul_f64 v[156:157], v[150:151], s[20:21]
	v_mul_f64 v[154:155], v[158:159], s[20:21]
	;; [unrolled: 1-line block ×8, first 2 shown]
	v_add_f64 v[11:12], v[72:73], v[11:12]
	v_add_f64 v[13:14], v[74:75], v[13:14]
	;; [unrolled: 1-line block ×4, first 2 shown]
	v_fma_f64 v[201:202], v[86:87], s[28:29], v[144:145]
	v_fma_f64 v[203:204], v[140:141], s[28:29], -v[146:147]
	v_fma_f64 v[205:206], v[86:87], s[24:25], v[176:177]
	v_fma_f64 v[207:208], v[140:141], s[24:25], -v[178:179]
	v_fma_f64 v[209:210], v[152:153], s[28:29], -v[187:188]
	v_add_f64 v[11:12], v[118:119], v[11:12]
	v_add_f64 v[13:14], v[120:121], v[13:14]
	;; [unrolled: 1-line block ×5, first 2 shown]
	v_fma_f64 v[118:119], v[148:149], s[18:19], v[154:155]
	v_fma_f64 v[120:121], v[152:153], s[18:19], -v[156:157]
	v_fma_f64 v[122:123], v[148:149], s[28:29], v[180:181]
	v_add_f64 v[11:12], v[201:202], v[11:12]
	v_add_f64 v[13:14], v[203:204], v[13:14]
	;; [unrolled: 1-line block ×4, first 2 shown]
	v_fma_f64 v[201:202], v[160:161], s[24:25], v[162:163]
	v_fma_f64 v[203:204], v[164:165], s[24:25], -v[168:169]
	v_fma_f64 v[205:206], v[160:161], s[16:17], v[189:190]
	v_fma_f64 v[207:208], v[164:165], s[16:17], -v[191:192]
	v_add_f64 v[11:12], v[118:119], v[11:12]
	v_add_f64 v[13:14], v[120:121], v[13:14]
	;; [unrolled: 1-line block ×4, first 2 shown]
	s_delay_alu instid0(VALU_DEP_4) | instskip(NEXT) | instid1(VALU_DEP_4)
	v_add_f64 v[120:121], v[201:202], v[11:12]
	v_add_f64 v[122:123], v[203:204], v[13:14]
	s_delay_alu instid0(VALU_DEP_4) | instskip(NEXT) | instid1(VALU_DEP_4)
	v_add_f64 v[116:117], v[205:206], v[15:16]
	v_add_f64 v[118:119], v[207:208], v[118:119]
	v_and_b32_e32 v11, 0xffff, v17
	scratch_store_b32 off, v11, off offset:156 ; 4-byte Folded Spill
	s_waitcnt_vscnt null, 0x0
	s_barrier
	buffer_gl0_inv
	s_and_saveexec_b32 s33, vcc_lo
	s_cbranch_execz .LBB0_5
; %bb.4:
	v_mul_f64 v[11:12], v[4:5], s[14:15]
	v_mul_f64 v[13:14], v[2:3], s[14:15]
	;; [unrolled: 1-line block ×4, first 2 shown]
	s_mov_b32 s39, 0x3fe82f19
	s_mov_b32 s38, s20
	v_add_f64 v[182:183], v[72:73], v[182:183]
	v_add_f64 v[184:185], v[74:75], v[185:186]
	s_mov_b32 s41, 0x3fed1bb4
	s_mov_b32 s40, s0
	v_mul_f64 v[221:222], v[164:165], s[28:29]
	v_mul_f64 v[223:224], v[174:175], s[22:23]
	v_add_f64 v[11:12], v[199:200], v[11:12]
	v_mul_f64 v[199:200], v[4:5], s[18:19]
	v_mul_f64 v[4:5], v[4:5], s[16:17]
	v_add_f64 v[13:14], v[13:14], -v[197:198]
	v_fma_f64 v[197:198], v[195:196], s[26:27], v[15:16]
	v_fma_f64 v[15:16], v[195:196], s[30:31], v[15:16]
	;; [unrolled: 1-line block ×3, first 2 shown]
	v_add_f64 v[11:12], v[74:75], v[11:12]
	v_fma_f64 v[201:202], v[195:196], s[38:39], v[199:200]
	v_fma_f64 v[199:200], v[195:196], s[20:21], v[199:200]
	;; [unrolled: 1-line block ×3, first 2 shown]
	v_add_f64 v[4:5], v[6:7], v[4:5]
	v_mul_f64 v[6:7], v[193:194], s[30:31]
	v_mul_f64 v[203:204], v[193:194], s[20:21]
	;; [unrolled: 1-line block ×3, first 2 shown]
	v_add_f64 v[13:14], v[72:73], v[13:14]
	v_add_f64 v[15:16], v[74:75], v[15:16]
	;; [unrolled: 1-line block ×6, first 2 shown]
	v_fma_f64 v[207:208], v[2:3], s[24:25], v[6:7]
	v_fma_f64 v[6:7], v[2:3], s[24:25], -v[6:7]
	v_fma_f64 v[209:210], v[2:3], s[18:19], -v[203:204]
	v_fma_f64 v[203:204], v[2:3], s[18:19], v[203:204]
	v_fma_f64 v[211:212], v[2:3], s[28:29], -v[193:194]
	v_fma_f64 v[193:194], v[2:3], s[28:29], v[193:194]
	v_mul_f64 v[2:3], v[2:3], s[16:17]
	v_add_f64 v[6:7], v[72:73], v[6:7]
	v_add_f64 v[209:210], v[72:73], v[209:210]
	v_add_f64 v[203:204], v[72:73], v[203:204]
	v_add_f64 v[193:194], v[72:73], v[193:194]
	v_add_f64 v[0:1], v[2:3], -v[0:1]
	v_add_f64 v[2:3], v[74:75], v[197:198]
	v_add_f64 v[197:198], v[72:73], v[207:208]
	;; [unrolled: 1-line block ×4, first 2 shown]
	v_mul_f64 v[4:5], v[132:133], s[16:17]
	v_mul_f64 v[74:75], v[140:141], s[18:19]
	v_add_f64 v[213:214], v[72:73], v[0:1]
	v_mul_f64 v[72:73], v[136:137], s[34:35]
	s_delay_alu instid0(VALU_DEP_4) | instskip(SKIP_1) | instid1(VALU_DEP_2)
	v_fma_f64 v[0:1], v[128:129], s[12:13], v[4:5]
	v_fma_f64 v[4:5], v[128:129], s[34:35], v[4:5]
	v_add_f64 v[0:1], v[0:1], v[2:3]
	s_delay_alu instid0(VALU_DEP_4) | instskip(NEXT) | instid1(VALU_DEP_3)
	v_fma_f64 v[2:3], v[94:95], s[16:17], v[72:73]
	v_add_f64 v[4:5], v[4:5], v[15:16]
	v_fma_f64 v[15:16], v[94:95], s[16:17], -v[72:73]
	v_fma_f64 v[72:73], v[160:161], s[28:29], -v[223:224]
	s_delay_alu instid0(VALU_DEP_4) | instskip(SKIP_1) | instid1(VALU_DEP_4)
	v_add_f64 v[2:3], v[2:3], v[197:198]
	v_fma_f64 v[197:198], v[138:139], s[38:39], v[74:75]
	v_add_f64 v[6:7], v[15:16], v[6:7]
	v_fma_f64 v[15:16], v[138:139], s[20:21], v[74:75]
	v_mul_f64 v[74:75], v[140:141], s[24:25]
	s_delay_alu instid0(VALU_DEP_4) | instskip(SKIP_1) | instid1(VALU_DEP_4)
	v_add_f64 v[0:1], v[197:198], v[0:1]
	v_mul_f64 v[197:198], v[142:143], s[20:21]
	v_add_f64 v[4:5], v[15:16], v[4:5]
	s_delay_alu instid0(VALU_DEP_4)
	v_add_f64 v[74:75], v[178:179], v[74:75]
	v_mul_f64 v[178:179], v[136:137], s[26:27]
	v_mul_f64 v[136:137], v[136:137], s[36:37]
	v_fma_f64 v[215:216], v[86:87], s[18:19], v[197:198]
	v_fma_f64 v[15:16], v[86:87], s[18:19], -v[197:198]
	v_mul_f64 v[197:198], v[164:165], s[18:19]
	s_delay_alu instid0(VALU_DEP_3) | instskip(SKIP_1) | instid1(VALU_DEP_4)
	v_add_f64 v[2:3], v[215:216], v[2:3]
	v_mul_f64 v[215:216], v[152:153], s[14:15]
	v_add_f64 v[6:7], v[15:16], v[6:7]
	s_delay_alu instid0(VALU_DEP_2) | instskip(SKIP_2) | instid1(VALU_DEP_3)
	v_fma_f64 v[217:218], v[150:151], s[0:1], v[215:216]
	v_fma_f64 v[15:16], v[150:151], s[40:41], v[215:216]
	v_mul_f64 v[215:216], v[164:165], s[14:15]
	v_add_f64 v[0:1], v[217:218], v[0:1]
	v_mul_f64 v[217:218], v[158:159], s[40:41]
	s_delay_alu instid0(VALU_DEP_4) | instskip(NEXT) | instid1(VALU_DEP_2)
	v_add_f64 v[4:5], v[15:16], v[4:5]
	v_fma_f64 v[15:16], v[148:149], s[14:15], -v[217:218]
	v_fma_f64 v[219:220], v[148:149], s[14:15], v[217:218]
	s_delay_alu instid0(VALU_DEP_2) | instskip(SKIP_1) | instid1(VALU_DEP_3)
	v_add_f64 v[15:16], v[15:16], v[6:7]
	v_fma_f64 v[6:7], v[166:167], s[22:23], v[221:222]
	v_add_f64 v[219:220], v[219:220], v[2:3]
	v_fma_f64 v[2:3], v[166:167], s[36:37], v[221:222]
	s_delay_alu instid0(VALU_DEP_3)
	v_add_f64 v[6:7], v[6:7], v[4:5]
	v_add_f64 v[4:5], v[72:73], v[15:16]
	v_mul_f64 v[15:16], v[132:133], s[18:19]
	v_mul_f64 v[72:73], v[94:95], s[18:19]
	v_add_f64 v[2:3], v[2:3], v[0:1]
	v_fma_f64 v[0:1], v[160:161], s[28:29], v[223:224]
	s_delay_alu instid0(VALU_DEP_4) | instskip(NEXT) | instid1(VALU_DEP_4)
	v_add_f64 v[15:16], v[172:173], v[15:16]
	v_add_f64 v[72:73], v[72:73], -v[170:171]
	v_mul_f64 v[170:171], v[86:87], s[24:25]
	v_mul_f64 v[172:173], v[152:153], s[28:29]
	v_add_f64 v[0:1], v[0:1], v[219:220]
	v_add_f64 v[11:12], v[15:16], v[11:12]
	;; [unrolled: 1-line block ×3, first 2 shown]
	v_add_f64 v[170:171], v[170:171], -v[176:177]
	v_add_f64 v[172:173], v[187:188], v[172:173]
	v_mul_f64 v[176:177], v[148:149], s[28:29]
	v_mul_f64 v[15:16], v[164:165], s[16:17]
	;; [unrolled: 1-line block ×5, first 2 shown]
	v_add_f64 v[11:12], v[74:75], v[11:12]
	v_add_f64 v[13:14], v[170:171], v[13:14]
	v_add_f64 v[176:177], v[176:177], -v[180:181]
	v_add_f64 v[15:16], v[191:192], v[15:16]
	v_add_f64 v[72:73], v[72:73], -v[189:190]
	v_mul_f64 v[180:181], v[140:141], s[14:15]
	v_mul_f64 v[188:189], v[152:153], s[16:17]
	;; [unrolled: 1-line block ×4, first 2 shown]
	v_add_f64 v[11:12], v[172:173], v[11:12]
	v_fma_f64 v[172:173], v[94:95], s[28:29], -v[136:137]
	v_fma_f64 v[136:137], v[94:95], s[28:29], v[136:137]
	v_add_f64 v[74:75], v[176:177], v[13:14]
	v_mul_f64 v[176:177], v[132:133], s[28:29]
	v_fma_f64 v[170:171], v[138:139], s[40:41], v[180:181]
	v_add_f64 v[13:14], v[15:16], v[11:12]
	v_mul_f64 v[15:16], v[132:133], s[24:25]
	v_add_f64 v[172:173], v[172:173], v[209:210]
	v_add_f64 v[136:137], v[136:137], v[203:204]
	;; [unrolled: 1-line block ×3, first 2 shown]
	v_fma_f64 v[74:75], v[94:95], s[24:25], -v[178:179]
	v_fma_f64 v[72:73], v[128:129], s[26:27], v[15:16]
	v_fma_f64 v[15:16], v[128:129], s[30:31], v[15:16]
	s_delay_alu instid0(VALU_DEP_3) | instskip(NEXT) | instid1(VALU_DEP_3)
	v_add_f64 v[74:75], v[74:75], v[207:208]
	v_add_f64 v[72:73], v[72:73], v[205:206]
	v_mul_f64 v[205:206], v[174:175], s[20:21]
	v_mul_f64 v[174:175], v[174:175], s[40:41]
	v_add_f64 v[15:16], v[15:16], v[195:196]
	s_delay_alu instid0(VALU_DEP_4) | instskip(SKIP_1) | instid1(VALU_DEP_1)
	v_add_f64 v[72:73], v[170:171], v[72:73]
	v_fma_f64 v[170:171], v[86:87], s[14:15], -v[186:187]
	v_add_f64 v[74:75], v[170:171], v[74:75]
	v_fma_f64 v[170:171], v[150:151], s[12:13], v[188:189]
	s_delay_alu instid0(VALU_DEP_1) | instskip(SKIP_1) | instid1(VALU_DEP_1)
	v_add_f64 v[72:73], v[170:171], v[72:73]
	v_fma_f64 v[170:171], v[148:149], s[16:17], -v[190:191]
	v_add_f64 v[170:171], v[170:171], v[74:75]
	v_fma_f64 v[74:75], v[166:167], s[20:21], v[197:198]
	s_delay_alu instid0(VALU_DEP_1) | instskip(SKIP_1) | instid1(VALU_DEP_1)
	v_add_f64 v[74:75], v[74:75], v[72:73]
	v_fma_f64 v[72:73], v[160:161], s[18:19], -v[205:206]
	v_add_f64 v[72:73], v[72:73], v[170:171]
	v_fma_f64 v[170:171], v[128:129], s[36:37], v[176:177]
	v_fma_f64 v[176:177], v[128:129], s[22:23], v[176:177]
	;; [unrolled: 1-line block ×3, first 2 shown]
	s_delay_alu instid0(VALU_DEP_3) | instskip(SKIP_1) | instid1(VALU_DEP_4)
	v_add_f64 v[170:171], v[170:171], v[199:200]
	v_mul_f64 v[199:200], v[140:141], s[16:17]
	v_add_f64 v[176:177], v[176:177], v[201:202]
	s_delay_alu instid0(VALU_DEP_4) | instskip(SKIP_1) | instid1(VALU_DEP_4)
	v_add_f64 v[15:16], v[128:129], v[15:16]
	v_fma_f64 v[128:129], v[86:87], s[14:15], v[186:187]
	v_fma_f64 v[207:208], v[138:139], s[12:13], v[199:200]
	;; [unrolled: 1-line block ×4, first 2 shown]
	s_delay_alu instid0(VALU_DEP_3) | instskip(SKIP_4) | instid1(VALU_DEP_4)
	v_add_f64 v[170:171], v[207:208], v[170:171]
	v_fma_f64 v[207:208], v[86:87], s[16:17], -v[142:143]
	v_fma_f64 v[142:143], v[86:87], s[16:17], v[142:143]
	v_add_f64 v[176:177], v[199:200], v[176:177]
	v_mul_f64 v[86:87], v[86:87], s[28:29]
	v_add_f64 v[172:173], v[207:208], v[172:173]
	v_mul_f64 v[207:208], v[152:153], s[24:25]
	v_add_f64 v[136:137], v[142:143], v[136:137]
	s_delay_alu instid0(VALU_DEP_4) | instskip(NEXT) | instid1(VALU_DEP_3)
	v_add_f64 v[86:87], v[86:87], -v[144:145]
	v_fma_f64 v[209:210], v[150:151], s[30:31], v[207:208]
	v_fma_f64 v[142:143], v[150:151], s[26:27], v[207:208]
	s_delay_alu instid0(VALU_DEP_2) | instskip(SKIP_2) | instid1(VALU_DEP_4)
	v_add_f64 v[170:171], v[209:210], v[170:171]
	v_fma_f64 v[209:210], v[148:149], s[24:25], -v[158:159]
	v_fma_f64 v[158:159], v[148:149], s[24:25], v[158:159]
	v_add_f64 v[142:143], v[142:143], v[176:177]
	s_delay_alu instid0(VALU_DEP_3) | instskip(SKIP_1) | instid1(VALU_DEP_4)
	v_add_f64 v[209:210], v[209:210], v[172:173]
	v_fma_f64 v[172:173], v[166:167], s[40:41], v[215:216]
	v_add_f64 v[136:137], v[158:159], v[136:137]
	v_fma_f64 v[158:159], v[166:167], s[0:1], v[215:216]
	s_delay_alu instid0(VALU_DEP_3) | instskip(SKIP_2) | instid1(VALU_DEP_4)
	v_add_f64 v[172:173], v[172:173], v[170:171]
	v_fma_f64 v[170:171], v[160:161], s[14:15], -v[174:175]
	v_fma_f64 v[174:175], v[160:161], s[14:15], v[174:175]
	v_add_f64 v[176:177], v[158:159], v[142:143]
	v_fma_f64 v[142:143], v[94:95], s[24:25], v[178:179]
	v_mul_f64 v[94:95], v[94:95], s[14:15]
	v_add_f64 v[170:171], v[170:171], v[209:210]
	v_add_f64 v[174:175], v[174:175], v[136:137]
	v_fma_f64 v[136:137], v[150:151], s[34:35], v[188:189]
	v_add_f64 v[142:143], v[142:143], v[193:194]
	v_add_f64 v[94:95], v[94:95], -v[130:131]
	v_mul_f64 v[130:131], v[152:153], s[18:19]
	s_delay_alu instid0(VALU_DEP_4) | instskip(NEXT) | instid1(VALU_DEP_4)
	v_add_f64 v[15:16], v[136:137], v[15:16]
	v_add_f64 v[128:129], v[128:129], v[142:143]
	v_fma_f64 v[136:137], v[148:149], s[16:17], v[190:191]
	s_delay_alu instid0(VALU_DEP_4)
	v_add_f64 v[130:131], v[156:157], v[130:131]
	v_add_f64 v[94:95], v[94:95], v[213:214]
	;; [unrolled: 1-line block ×3, first 2 shown]
	v_mul_f64 v[15:16], v[132:133], s[14:15]
	v_add_f64 v[128:129], v[136:137], v[128:129]
	v_fma_f64 v[136:137], v[160:161], s[18:19], v[205:206]
	v_mul_f64 v[132:133], v[148:149], s[18:19]
	v_add_f64 v[86:87], v[86:87], v[94:95]
	v_mul_f64 v[94:95], v[160:161], s[24:25]
	v_add_f64 v[15:16], v[134:135], v[15:16]
	;; [unrolled: 2-line block ×3, first 2 shown]
	v_mul_f64 v[128:129], v[140:141], s[28:29]
	v_add_f64 v[132:133], v[132:133], -v[154:155]
	v_add_f64 v[94:95], v[94:95], -v[162:163]
	v_add_f64 v[15:16], v[15:16], v[211:212]
	v_add_f64 v[134:135], v[168:169], v[134:135]
	;; [unrolled: 1-line block ×4, first 2 shown]
	s_delay_alu instid0(VALU_DEP_2) | instskip(NEXT) | instid1(VALU_DEP_2)
	v_add_f64 v[15:16], v[128:129], v[15:16]
	v_add_f64 v[128:129], v[94:95], v[86:87]
	v_add_f64 v[86:87], v[182:183], v[124:125]
	s_delay_alu instid0(VALU_DEP_3) | instskip(NEXT) | instid1(VALU_DEP_2)
	v_add_f64 v[15:16], v[130:131], v[15:16]
	v_add_f64 v[86:87], v[86:87], v[112:113]
	s_delay_alu instid0(VALU_DEP_2) | instskip(SKIP_1) | instid1(VALU_DEP_3)
	v_add_f64 v[130:131], v[134:135], v[15:16]
	v_add_f64 v[15:16], v[184:185], v[126:127]
	;; [unrolled: 1-line block ×3, first 2 shown]
	s_delay_alu instid0(VALU_DEP_2) | instskip(NEXT) | instid1(VALU_DEP_2)
	v_add_f64 v[15:16], v[15:16], v[114:115]
	v_add_f64 v[80:81], v[86:87], v[80:81]
	s_delay_alu instid0(VALU_DEP_2) | instskip(NEXT) | instid1(VALU_DEP_2)
	v_add_f64 v[15:16], v[15:16], v[110:111]
	v_add_f64 v[80:81], v[80:81], v[82:83]
	;; [unrolled: 3-line block ×6, first 2 shown]
	s_delay_alu instid0(VALU_DEP_2) | instskip(NEXT) | instid1(VALU_DEP_1)
	v_add_f64 v[15:16], v[15:16], v[106:107]
	v_add_f64 v[82:83], v[15:16], v[102:103]
	s_clause 0x1
	scratch_load_b32 v15, off, off offset:156
	scratch_load_b32 v16, off, off offset:152
	s_waitcnt vmcnt(1)
	v_mul_u32_u24_e32 v15, 33, v15
	s_waitcnt vmcnt(0)
	s_delay_alu instid0(VALU_DEP_1)
	v_add_lshl_u32 v15, v15, v16, 4
	ds_store_b128 v15, v[11:14] offset:96
	ds_store_b128 v15, v[72:75] offset:144
	;; [unrolled: 1-line block ×9, first 2 shown]
	ds_store_b128 v15, v[80:83]
	ds_store_b128 v15, v[120:123] offset:480
.LBB0_5:
	s_or_b32 exec_lo, exec_lo, s33
	v_and_b32_e32 v0, 0xffff, v9
	v_mul_lo_u16 v1, 0xf9, v10
	v_and_b32_e32 v2, 0xff, v8
	s_waitcnt lgkmcnt(0)
	s_barrier
	v_mul_u32_u24_e32 v0, 0xf83f, v0
	v_lshrrev_b16 v20, 13, v1
	v_mul_lo_u16 v1, 0xf9, v2
	buffer_gl0_inv
	s_mov_b32 s13, 0xbfebb67a
	v_lshrrev_b32_e32 v21, 21, v0
	v_mul_lo_u16 v0, v20, 33
	v_lshrrev_b16 v22, 13, v1
	s_delay_alu instid0(VALU_DEP_3) | instskip(NEXT) | instid1(VALU_DEP_3)
	v_mul_lo_u16 v1, v21, 33
	v_sub_nc_u16 v0, v18, v0
	s_delay_alu instid0(VALU_DEP_3) | instskip(NEXT) | instid1(VALU_DEP_3)
	v_mul_lo_u16 v2, v22, 33
	v_sub_nc_u16 v23, v9, v1
	s_delay_alu instid0(VALU_DEP_3) | instskip(NEXT) | instid1(VALU_DEP_3)
	v_and_b32_e32 v24, 0xff, v0
	v_sub_nc_u16 v0, v8, v2
	s_delay_alu instid0(VALU_DEP_3) | instskip(NEXT) | instid1(VALU_DEP_3)
	v_lshlrev_b16 v1, 5, v23
	v_lshlrev_b32_e32 v2, 5, v24
	s_delay_alu instid0(VALU_DEP_3)
	v_and_b32_e32 v25, 0xff, v0
	s_clause 0x1
	global_load_b128 v[80:83], v2, s[10:11] offset:496
	global_load_b128 v[84:87], v2, s[10:11] offset:480
	v_and_b32_e32 v0, 0xffff, v1
	v_lshlrev_b32_e32 v2, 5, v25
	s_delay_alu instid0(VALU_DEP_2) | instskip(NEXT) | instid1(VALU_DEP_1)
	v_add_co_u32 v0, s0, s10, v0
	v_add_co_ci_u32_e64 v1, null, s11, 0, s0
	s_clause 0x3
	global_load_b128 v[92:95], v2, s[10:11] offset:480
	global_load_b128 v[88:91], v2, s[10:11] offset:496
	global_load_b128 v[100:103], v[0:1], off offset:480
	global_load_b128 v[96:99], v[0:1], off offset:496
	ds_load_b128 v[0:3], v19 offset:5808
	ds_load_b128 v[4:7], v19 offset:11616
	ds_load_b128 v[8:11], v19 offset:7744
	ds_load_b128 v[12:15], v19 offset:13552
	ds_load_b128 v[72:75], v19 offset:9680
	ds_load_b128 v[104:107], v19 offset:15488
	ds_load_b128 v[108:111], v19 offset:3872
	s_mov_b32 s0, 0xe8584caa
	s_mov_b32 s1, 0x3febb67a
	;; [unrolled: 1-line block ×3, first 2 shown]
	s_waitcnt vmcnt(5) lgkmcnt(5)
	v_mul_f64 v[112:113], v[6:7], v[82:83]
	s_waitcnt vmcnt(4)
	v_mul_f64 v[16:17], v[2:3], v[86:87]
	v_mul_f64 v[114:115], v[0:1], v[86:87]
	;; [unrolled: 1-line block ×3, first 2 shown]
	s_waitcnt vmcnt(3) lgkmcnt(4)
	v_mul_f64 v[126:127], v[10:11], v[94:95]
	s_waitcnt vmcnt(2) lgkmcnt(3)
	v_mul_f64 v[128:129], v[14:15], v[90:91]
	v_mul_f64 v[130:131], v[8:9], v[94:95]
	;; [unrolled: 1-line block ×3, first 2 shown]
	s_waitcnt vmcnt(1) lgkmcnt(2)
	v_mul_f64 v[134:135], v[74:75], v[102:103]
	s_waitcnt vmcnt(0) lgkmcnt(1)
	v_mul_f64 v[136:137], v[106:107], v[98:99]
	v_mul_f64 v[138:139], v[72:73], v[102:103]
	v_mul_f64 v[140:141], v[104:105], v[98:99]
	v_fma_f64 v[112:113], v[4:5], v[80:81], -v[112:113]
	v_fma_f64 v[16:17], v[0:1], v[84:85], -v[16:17]
	v_fma_f64 v[114:115], v[2:3], v[84:85], v[114:115]
	v_fma_f64 v[124:125], v[6:7], v[80:81], v[124:125]
	ds_load_b128 v[0:3], v19
	ds_load_b128 v[4:7], v19 offset:1936
	s_waitcnt lgkmcnt(0)
	s_barrier
	buffer_gl0_inv
	v_fma_f64 v[8:9], v[8:9], v[92:93], -v[126:127]
	v_fma_f64 v[12:13], v[12:13], v[88:89], -v[128:129]
	v_fma_f64 v[10:11], v[10:11], v[92:93], v[130:131]
	v_fma_f64 v[14:15], v[14:15], v[88:89], v[132:133]
	v_fma_f64 v[72:73], v[72:73], v[100:101], -v[134:135]
	v_fma_f64 v[104:105], v[104:105], v[96:97], -v[136:137]
	v_fma_f64 v[74:75], v[74:75], v[100:101], v[138:139]
	v_fma_f64 v[106:107], v[106:107], v[96:97], v[140:141]
	v_add_f64 v[126:127], v[16:17], v[112:113]
	v_add_f64 v[138:139], v[0:1], v[16:17]
	;; [unrolled: 1-line block ×3, first 2 shown]
	v_add_f64 v[144:145], v[114:115], -v[124:125]
	v_add_f64 v[114:115], v[2:3], v[114:115]
	v_add_f64 v[16:17], v[16:17], -v[112:113]
	v_add_f64 v[140:141], v[4:5], v[8:9]
	v_add_f64 v[130:131], v[8:9], v[12:13]
	;; [unrolled: 1-line block ×8, first 2 shown]
	v_add_f64 v[10:11], v[10:11], -v[14:15]
	v_add_f64 v[8:9], v[8:9], -v[12:13]
	;; [unrolled: 1-line block ×4, first 2 shown]
	v_fma_f64 v[0:1], v[126:127], -0.5, v[0:1]
	v_add_f64 v[148:149], v[138:139], v[112:113]
	v_fma_f64 v[2:3], v[128:129], -0.5, v[2:3]
	v_add_f64 v[150:151], v[114:115], v[124:125]
	v_add_f64 v[128:129], v[140:141], v[12:13]
	v_fma_f64 v[4:5], v[130:131], -0.5, v[4:5]
	v_add_f64 v[130:131], v[142:143], v[14:15]
	v_fma_f64 v[6:7], v[132:133], -0.5, v[6:7]
	;; [unrolled: 2-line block ×4, first 2 shown]
	v_fma_f64 v[108:109], v[144:145], s[0:1], v[0:1]
	v_fma_f64 v[124:125], v[144:145], s[12:13], v[0:1]
	;; [unrolled: 1-line block ×4, first 2 shown]
	v_and_b32_e32 v0, 0xffff, v20
	v_and_b32_e32 v1, 0xffff, v22
	v_mad_u16 v2, 0x63, v21, v23
	v_fma_f64 v[132:133], v[10:11], s[0:1], v[4:5]
	v_fma_f64 v[144:145], v[10:11], s[12:13], v[4:5]
	v_fma_f64 v[134:135], v[8:9], s[12:13], v[6:7]
	v_fma_f64 v[146:147], v[8:9], s[0:1], v[6:7]
	v_fma_f64 v[136:137], v[74:75], s[0:1], v[154:155]
	v_fma_f64 v[152:153], v[74:75], s[12:13], v[154:155]
	v_fma_f64 v[138:139], v[72:73], s[12:13], v[156:157]
	v_fma_f64 v[154:155], v[72:73], s[0:1], v[156:157]
	v_mul_u32_u24_e32 v0, 0x63, v0
	v_mul_u32_u24_e32 v1, 0x63, v1
	v_and_b32_e32 v2, 0xffff, v2
	s_delay_alu instid0(VALU_DEP_3) | instskip(NEXT) | instid1(VALU_DEP_3)
	v_add_lshl_u32 v184, v0, v24, 4
	v_add_lshl_u32 v255, v1, v25, 4
	s_delay_alu instid0(VALU_DEP_3)
	v_lshlrev_b32_e32 v0, 4, v2
	ds_store_b128 v184, v[148:151]
	ds_store_b128 v184, v[108:111] offset:528
	ds_store_b128 v184, v[124:127] offset:1056
	ds_store_b128 v255, v[128:131]
	ds_store_b128 v255, v[132:135] offset:528
	ds_store_b128 v255, v[144:147] offset:1056
	ds_store_b128 v0, v[140:143]
	ds_store_b128 v0, v[136:139] offset:528
	scratch_store_b32 off, v0, off offset:172 ; 4-byte Folded Spill
	ds_store_b128 v0, v[152:155] offset:1056
	s_waitcnt lgkmcnt(0)
	s_waitcnt_vscnt null, 0x0
	s_barrier
	buffer_gl0_inv
	s_and_saveexec_b32 s0, vcc_lo
	s_cbranch_execz .LBB0_7
; %bb.6:
	ds_load_b128 v[148:151], v19
	ds_load_b128 v[108:111], v19 offset:1584
	ds_load_b128 v[124:127], v19 offset:3168
	;; [unrolled: 1-line block ×10, first 2 shown]
.LBB0_7:
	s_or_b32 exec_lo, exec_lo, s0
	v_add_nc_u32_e32 v0, 0xffffff9d, v18
	s_mov_b32 s14, 0xf8bb580b
	s_mov_b32 s15, 0xbfe14ced
	;; [unrolled: 1-line block ×4, first 2 shown]
	v_cndmask_b32_e32 v0, v0, v18, vcc_lo
	s_mov_b32 s20, 0x43842ef
	s_mov_b32 s21, 0xbfefac9e
	;; [unrolled: 1-line block ×4, first 2 shown]
	v_mul_i32_i24_e32 v1, 0xa0, v0
	v_mul_hi_i32_i24_e32 v2, 0xa0, v0
	s_mov_b32 s28, 0xbb3a28a1
	s_mov_b32 s29, 0xbfe82f19
	;; [unrolled: 1-line block ×3, first 2 shown]
	v_add_co_u32 v0, s0, s10, v1
	s_delay_alu instid0(VALU_DEP_1)
	v_add_co_ci_u32_e64 v1, s0, s11, v2, s0
	s_mov_b32 s10, 0x8764f0ba
	s_mov_b32 s11, 0x3feaeb8c
	;; [unrolled: 1-line block ×3, first 2 shown]
	s_clause 0x1
	global_load_b128 v[72:75], v[0:1], off offset:1536
	global_load_b128 v[104:107], v[0:1], off offset:1552
	s_mov_b32 s1, 0x3fda9628
	s_mov_b32 s24, s26
	;; [unrolled: 1-line block ×8, first 2 shown]
	s_waitcnt vmcnt(1) lgkmcnt(9)
	v_mul_f64 v[2:3], v[110:111], v[74:75]
	s_delay_alu instid0(VALU_DEP_1) | instskip(SKIP_1) | instid1(VALU_DEP_1)
	v_fma_f64 v[205:206], v[108:109], v[72:73], -v[2:3]
	v_mul_f64 v[2:3], v[108:109], v[74:75]
	v_fma_f64 v[207:208], v[110:111], v[72:73], v[2:3]
	s_clause 0x1
	global_load_b128 v[108:111], v[0:1], off offset:1680
	global_load_b128 v[112:115], v[0:1], off offset:1664
	s_waitcnt vmcnt(1) lgkmcnt(0)
	v_mul_f64 v[2:3], v[120:121], v[110:111]
	s_delay_alu instid0(VALU_DEP_1) | instskip(SKIP_1) | instid1(VALU_DEP_2)
	v_fma_f64 v[22:23], v[122:123], v[108:109], v[2:3]
	v_mul_f64 v[2:3], v[122:123], v[110:111]
	v_add_f64 v[6:7], v[207:208], -v[22:23]
	s_delay_alu instid0(VALU_DEP_2) | instskip(SKIP_2) | instid1(VALU_DEP_3)
	v_fma_f64 v[24:25], v[120:121], v[108:109], -v[2:3]
	v_mul_f64 v[2:3], v[126:127], v[106:107]
	v_add_f64 v[10:11], v[207:208], v[22:23]
	v_add_f64 v[4:5], v[205:206], v[24:25]
	s_delay_alu instid0(VALU_DEP_3) | instskip(SKIP_2) | instid1(VALU_DEP_2)
	v_fma_f64 v[164:165], v[124:125], v[104:105], -v[2:3]
	v_mul_f64 v[2:3], v[124:125], v[106:107]
	v_add_f64 v[12:13], v[205:206], -v[24:25]
	v_fma_f64 v[166:167], v[126:127], v[104:105], v[2:3]
	s_waitcnt vmcnt(0)
	v_mul_f64 v[2:3], v[116:117], v[114:115]
	s_delay_alu instid0(VALU_DEP_1) | instskip(SKIP_1) | instid1(VALU_DEP_2)
	v_fma_f64 v[160:161], v[118:119], v[112:113], v[2:3]
	v_mul_f64 v[2:3], v[118:119], v[114:115]
	v_add_f64 v[201:202], v[166:167], -v[160:161]
	s_delay_alu instid0(VALU_DEP_2)
	v_fma_f64 v[162:163], v[116:117], v[112:113], -v[2:3]
	s_clause 0x1
	global_load_b128 v[116:119], v[0:1], off offset:1568
	global_load_b128 v[124:127], v[0:1], off offset:1584
	v_add_f64 v[193:194], v[166:167], v[160:161]
	v_mul_f64 v[26:27], v[201:202], s[12:13]
	v_add_f64 v[189:190], v[164:165], v[162:163]
	v_add_f64 v[203:204], v[164:165], -v[162:163]
	v_mul_f64 v[241:242], v[201:202], s[28:29]
	s_delay_alu instid0(VALU_DEP_3) | instskip(NEXT) | instid1(VALU_DEP_3)
	v_fma_f64 v[8:9], v[189:190], s[0:1], v[26:27]
	v_mul_f64 v[28:29], v[203:204], s[12:13]
	v_mul_f64 v[245:246], v[203:204], s[28:29]
	s_delay_alu instid0(VALU_DEP_2) | instskip(SKIP_2) | instid1(VALU_DEP_1)
	v_fma_f64 v[16:17], v[193:194], s[0:1], -v[28:29]
	s_waitcnt vmcnt(1)
	v_mul_f64 v[2:3], v[130:131], v[118:119]
	v_fma_f64 v[168:169], v[128:129], v[116:117], -v[2:3]
	v_mul_f64 v[2:3], v[128:129], v[118:119]
	s_delay_alu instid0(VALU_DEP_1)
	v_fma_f64 v[170:171], v[130:131], v[116:117], v[2:3]
	s_clause 0x1
	global_load_b128 v[120:123], v[0:1], off offset:1648
	global_load_b128 v[128:131], v[0:1], off offset:1632
	s_waitcnt vmcnt(1)
	v_mul_f64 v[2:3], v[152:153], v[122:123]
	s_delay_alu instid0(VALU_DEP_1) | instskip(SKIP_1) | instid1(VALU_DEP_2)
	v_fma_f64 v[172:173], v[154:155], v[120:121], v[2:3]
	v_mul_f64 v[2:3], v[154:155], v[122:123]
	v_add_f64 v[227:228], v[170:171], -v[172:173]
	s_delay_alu instid0(VALU_DEP_2) | instskip(SKIP_2) | instid1(VALU_DEP_4)
	v_fma_f64 v[152:153], v[152:153], v[120:121], -v[2:3]
	v_mul_f64 v[2:3], v[134:135], v[126:127]
	v_add_f64 v[209:210], v[170:171], v[172:173]
	v_mul_f64 v[30:31], v[227:228], s[20:21]
	s_delay_alu instid0(VALU_DEP_4) | instskip(NEXT) | instid1(VALU_DEP_4)
	v_add_f64 v[197:198], v[168:169], v[152:153]
	v_fma_f64 v[174:175], v[132:133], v[124:125], -v[2:3]
	v_mul_f64 v[2:3], v[132:133], v[126:127]
	v_add_f64 v[225:226], v[168:169], -v[152:153]
	v_mul_f64 v[243:244], v[227:228], s[26:27]
	s_delay_alu instid0(VALU_DEP_3) | instskip(SKIP_2) | instid1(VALU_DEP_4)
	v_fma_f64 v[178:179], v[134:135], v[124:125], v[2:3]
	s_waitcnt vmcnt(0)
	v_mul_f64 v[2:3], v[138:139], v[130:131]
	v_mul_f64 v[211:212], v[225:226], s[20:21]
	;; [unrolled: 1-line block ×3, first 2 shown]
	s_delay_alu instid0(VALU_DEP_3) | instskip(SKIP_1) | instid1(VALU_DEP_2)
	v_fma_f64 v[154:155], v[136:137], v[128:129], -v[2:3]
	v_mul_f64 v[2:3], v[136:137], v[130:131]
	v_add_f64 v[213:214], v[174:175], v[154:155]
	s_delay_alu instid0(VALU_DEP_2)
	v_fma_f64 v[176:177], v[138:139], v[128:129], v[2:3]
	s_clause 0x1
	global_load_b128 v[132:135], v[0:1], off offset:1600
	global_load_b128 v[136:139], v[0:1], off offset:1616
	v_mul_f64 v[2:3], v[6:7], s[14:15]
	v_add_f64 v[233:234], v[174:175], -v[154:155]
	v_add_f64 v[235:236], v[178:179], -v[176:177]
	v_add_f64 v[221:222], v[178:179], v[176:177]
	s_delay_alu instid0(VALU_DEP_3) | instskip(SKIP_1) | instid1(VALU_DEP_4)
	v_mul_f64 v[223:224], v[233:234], s[28:29]
	v_mul_f64 v[253:254], v[233:234], s[34:35]
	;; [unrolled: 1-line block ×4, first 2 shown]
	s_waitcnt vmcnt(1)
	v_mul_f64 v[0:1], v[146:147], v[134:135]
	s_delay_alu instid0(VALU_DEP_1) | instskip(SKIP_1) | instid1(VALU_DEP_1)
	v_fma_f64 v[180:181], v[144:145], v[132:133], -v[0:1]
	v_mul_f64 v[0:1], v[144:145], v[134:135]
	v_fma_f64 v[185:186], v[146:147], v[132:133], v[0:1]
	s_waitcnt vmcnt(0)
	v_mul_f64 v[0:1], v[142:143], v[138:139]
	s_delay_alu instid0(VALU_DEP_1) | instskip(SKIP_1) | instid1(VALU_DEP_2)
	v_fma_f64 v[182:183], v[140:141], v[136:137], -v[0:1]
	v_mul_f64 v[0:1], v[140:141], v[138:139]
	v_add_f64 v[217:218], v[180:181], v[182:183]
	s_delay_alu instid0(VALU_DEP_2) | instskip(SKIP_3) | instid1(VALU_DEP_4)
	v_fma_f64 v[187:188], v[142:143], v[136:137], v[0:1]
	v_fma_f64 v[0:1], v[4:5], s[10:11], v[2:3]
	v_add_f64 v[237:238], v[180:181], -v[182:183]
	v_fma_f64 v[142:143], v[193:194], s[18:19], -v[245:246]
	v_add_f64 v[239:240], v[185:186], -v[187:188]
	s_delay_alu instid0(VALU_DEP_4) | instskip(SKIP_2) | instid1(VALU_DEP_4)
	v_add_f64 v[0:1], v[148:149], v[0:1]
	v_add_f64 v[229:230], v[185:186], v[187:188]
	v_mul_f64 v[231:232], v[237:238], s[24:25]
	v_mul_f64 v[219:220], v[239:240], s[24:25]
	s_delay_alu instid0(VALU_DEP_4) | instskip(SKIP_2) | instid1(VALU_DEP_2)
	v_add_f64 v[0:1], v[8:9], v[0:1]
	v_mul_f64 v[8:9], v[12:13], s[14:15]
	v_mul_f64 v[249:250], v[239:240], s[30:31]
	v_fma_f64 v[14:15], v[10:11], s[10:11], -v[8:9]
	s_delay_alu instid0(VALU_DEP_1) | instskip(NEXT) | instid1(VALU_DEP_1)
	v_add_f64 v[14:15], v[150:151], v[14:15]
	v_add_f64 v[14:15], v[16:17], v[14:15]
	v_fma_f64 v[16:17], v[197:198], s[16:17], v[30:31]
	s_delay_alu instid0(VALU_DEP_1) | instskip(SKIP_1) | instid1(VALU_DEP_1)
	v_add_f64 v[0:1], v[16:17], v[0:1]
	v_fma_f64 v[16:17], v[209:210], s[16:17], -v[211:212]
	v_add_f64 v[14:15], v[16:17], v[14:15]
	v_fma_f64 v[16:17], v[213:214], s[18:19], v[215:216]
	s_delay_alu instid0(VALU_DEP_1) | instskip(SKIP_1) | instid1(VALU_DEP_1)
	v_add_f64 v[0:1], v[16:17], v[0:1]
	v_fma_f64 v[16:17], v[221:222], s[18:19], -v[223:224]
	v_add_f64 v[14:15], v[16:17], v[14:15]
	v_fma_f64 v[16:17], v[217:218], s[22:23], v[219:220]
	s_delay_alu instid0(VALU_DEP_1) | instskip(SKIP_2) | instid1(VALU_DEP_2)
	v_add_f64 v[144:145], v[16:17], v[0:1]
	v_fma_f64 v[0:1], v[229:230], s[22:23], -v[231:232]
	v_fma_f64 v[16:17], v[189:190], s[18:19], v[241:242]
	v_add_f64 v[146:147], v[0:1], v[14:15]
	v_mul_f64 v[14:15], v[6:7], s[12:13]
	s_delay_alu instid0(VALU_DEP_1) | instskip(NEXT) | instid1(VALU_DEP_1)
	v_fma_f64 v[0:1], v[4:5], s[0:1], v[14:15]
	v_add_f64 v[0:1], v[148:149], v[0:1]
	s_delay_alu instid0(VALU_DEP_1) | instskip(SKIP_1) | instid1(VALU_DEP_1)
	v_add_f64 v[0:1], v[16:17], v[0:1]
	v_mul_f64 v[16:17], v[12:13], s[12:13]
	v_fma_f64 v[140:141], v[10:11], s[0:1], -v[16:17]
	s_delay_alu instid0(VALU_DEP_1) | instskip(NEXT) | instid1(VALU_DEP_1)
	v_add_f64 v[140:141], v[150:151], v[140:141]
	v_add_f64 v[140:141], v[142:143], v[140:141]
	v_fma_f64 v[142:143], v[197:198], s[22:23], v[243:244]
	s_delay_alu instid0(VALU_DEP_1) | instskip(SKIP_1) | instid1(VALU_DEP_1)
	v_add_f64 v[0:1], v[142:143], v[0:1]
	v_fma_f64 v[142:143], v[209:210], s[22:23], -v[251:252]
	v_add_f64 v[140:141], v[142:143], v[140:141]
	v_fma_f64 v[142:143], v[213:214], s[16:17], v[247:248]
	s_delay_alu instid0(VALU_DEP_1) | instskip(SKIP_1) | instid1(VALU_DEP_1)
	v_add_f64 v[0:1], v[142:143], v[0:1]
	v_fma_f64 v[142:143], v[221:222], s[16:17], -v[253:254]
	v_add_f64 v[142:143], v[142:143], v[140:141]
	v_fma_f64 v[140:141], v[217:218], s[10:11], v[249:250]
	s_delay_alu instid0(VALU_DEP_1) | instskip(SKIP_1) | instid1(VALU_DEP_1)
	v_add_f64 v[140:141], v[140:141], v[0:1]
	v_mul_f64 v[0:1], v[237:238], s[30:31]
	v_fma_f64 v[20:21], v[229:230], s[10:11], -v[0:1]
	s_delay_alu instid0(VALU_DEP_1)
	v_add_f64 v[142:143], v[20:21], v[142:143]
	s_and_saveexec_b32 s33, vcc_lo
	s_cbranch_execz .LBB0_9
; %bb.8:
	v_mul_f64 v[20:21], v[10:11], s[0:1]
	s_clause 0x2
	scratch_store_b64 off, v[22:23], off offset:176
	scratch_store_b64 off, v[24:25], off offset:184
	;; [unrolled: 1-line block ×3, first 2 shown]
	v_mul_f64 v[24:25], v[10:11], s[18:19]
	scratch_store_b64 off, v[28:29], off offset:224 ; 8-byte Folded Spill
	v_mul_f64 v[28:29], v[10:11], s[16:17]
	s_mov_b32 s37, 0x3fe82f19
	s_mov_b32 s36, s28
	scratch_store_b64 off, v[26:27], off offset:200 ; 8-byte Folded Spill
	s_mov_b32 s39, 0x3fed1bb4
	s_mov_b32 s38, s12
	v_mul_f64 v[158:159], v[239:240], s[20:21]
	v_add_f64 v[16:17], v[16:17], v[20:21]
	v_mul_f64 v[20:21], v[4:5], s[0:1]
	v_fma_f64 v[26:27], v[12:13], s[36:37], v[24:25]
	v_fma_f64 v[24:25], v[12:13], s[28:29], v[24:25]
	;; [unrolled: 1-line block ×3, first 2 shown]
	v_add_f64 v[16:17], v[150:151], v[16:17]
	v_add_f64 v[14:15], v[20:21], -v[14:15]
	v_mul_f64 v[20:21], v[10:11], s[22:23]
	v_mul_f64 v[10:11], v[10:11], s[10:11]
	v_add_f64 v[26:27], v[150:151], v[26:27]
	v_add_f64 v[24:25], v[150:151], v[24:25]
	;; [unrolled: 1-line block ×4, first 2 shown]
	v_fma_f64 v[22:23], v[12:13], s[26:27], v[20:21]
	v_fma_f64 v[20:21], v[12:13], s[24:25], v[20:21]
	;; [unrolled: 1-line block ×3, first 2 shown]
	v_add_f64 v[8:9], v[8:9], v[10:11]
	v_mul_f64 v[10:11], v[6:7], s[24:25]
	v_mul_f64 v[28:29], v[6:7], s[28:29]
	;; [unrolled: 1-line block ×3, first 2 shown]
	v_add_f64 v[20:21], v[150:151], v[20:21]
	v_add_f64 v[199:200], v[150:151], v[8:9]
	v_fma_f64 v[32:33], v[4:5], s[22:23], v[10:11]
	v_fma_f64 v[10:11], v[4:5], s[22:23], -v[10:11]
	v_fma_f64 v[34:35], v[4:5], s[18:19], -v[28:29]
	v_fma_f64 v[28:29], v[4:5], s[18:19], v[28:29]
	v_fma_f64 v[191:192], v[4:5], s[16:17], -v[6:7]
	v_fma_f64 v[6:7], v[4:5], s[16:17], v[6:7]
	v_mul_f64 v[4:5], v[4:5], s[10:11]
	v_mul_f64 v[8:9], v[201:202], s[30:31]
	v_add_f64 v[10:11], v[148:149], v[10:11]
	v_add_f64 v[34:35], v[148:149], v[34:35]
	;; [unrolled: 1-line block ×4, first 2 shown]
	v_add_f64 v[2:3], v[4:5], -v[2:3]
	v_add_f64 v[4:5], v[150:151], v[207:208]
	v_mul_f64 v[6:7], v[193:194], s[10:11]
	v_mul_f64 v[207:208], v[229:230], s[16:17]
	s_delay_alu instid0(VALU_DEP_4)
	v_add_f64 v[156:157], v[148:149], v[2:3]
	scratch_store_b64 off, v[4:5], off offset:208 ; 8-byte Folded Spill
	v_add_f64 v[4:5], v[148:149], v[205:206]
	v_fma_f64 v[2:3], v[203:204], s[14:15], v[6:7]
	v_fma_f64 v[6:7], v[203:204], s[30:31], v[6:7]
	scratch_store_b64 off, v[4:5], off offset:216 ; 8-byte Folded Spill
	v_add_f64 v[4:5], v[150:151], v[22:23]
	v_add_f64 v[22:23], v[148:149], v[32:33]
	;; [unrolled: 1-line block ×4, first 2 shown]
	v_mul_f64 v[12:13], v[209:210], s[18:19]
	v_add_f64 v[6:7], v[6:7], v[20:21]
	v_mul_f64 v[20:21], v[209:210], s[22:23]
	v_add_f64 v[2:3], v[2:3], v[4:5]
	v_fma_f64 v[4:5], v[189:190], s[10:11], v[8:9]
	v_fma_f64 v[8:9], v[189:190], s[10:11], -v[8:9]
	s_delay_alu instid0(VALU_DEP_4) | instskip(NEXT) | instid1(VALU_DEP_3)
	v_add_f64 v[20:21], v[251:252], v[20:21]
	v_add_f64 v[4:5], v[4:5], v[22:23]
	v_fma_f64 v[22:23], v[225:226], s[36:37], v[12:13]
	s_delay_alu instid0(VALU_DEP_4) | instskip(SKIP_2) | instid1(VALU_DEP_4)
	v_add_f64 v[8:9], v[8:9], v[10:11]
	v_fma_f64 v[10:11], v[225:226], s[28:29], v[12:13]
	v_fma_f64 v[12:13], v[217:218], s[16:17], -v[158:159]
	v_add_f64 v[2:3], v[22:23], v[2:3]
	v_mul_f64 v[22:23], v[227:228], s[28:29]
	s_delay_alu instid0(VALU_DEP_4) | instskip(NEXT) | instid1(VALU_DEP_2)
	v_add_f64 v[6:7], v[10:11], v[6:7]
	v_fma_f64 v[148:149], v[197:198], s[18:19], v[22:23]
	v_fma_f64 v[10:11], v[197:198], s[18:19], -v[22:23]
	v_mul_f64 v[22:23], v[197:198], s[22:23]
	s_delay_alu instid0(VALU_DEP_3) | instskip(SKIP_1) | instid1(VALU_DEP_4)
	v_add_f64 v[4:5], v[148:149], v[4:5]
	v_mul_f64 v[148:149], v[221:222], s[0:1]
	v_add_f64 v[8:9], v[10:11], v[8:9]
	s_delay_alu instid0(VALU_DEP_4)
	v_add_f64 v[22:23], v[22:23], -v[243:244]
	v_mul_f64 v[243:244], v[239:240], s[28:29]
	v_mul_f64 v[239:240], v[239:240], s[38:39]
	v_fma_f64 v[150:151], v[233:234], s[12:13], v[148:149]
	v_fma_f64 v[10:11], v[233:234], s[38:39], v[148:149]
	v_mul_f64 v[148:149], v[221:222], s[16:17]
	s_delay_alu instid0(VALU_DEP_3) | instskip(SKIP_1) | instid1(VALU_DEP_4)
	v_add_f64 v[2:3], v[150:151], v[2:3]
	v_mul_f64 v[150:151], v[235:236], s[38:39]
	v_add_f64 v[6:7], v[10:11], v[6:7]
	s_delay_alu instid0(VALU_DEP_4) | instskip(NEXT) | instid1(VALU_DEP_3)
	v_add_f64 v[148:149], v[253:254], v[148:149]
	v_fma_f64 v[10:11], v[213:214], s[0:1], -v[150:151]
	v_fma_f64 v[205:206], v[213:214], s[0:1], v[150:151]
	v_mul_f64 v[150:151], v[213:214], s[16:17]
	s_delay_alu instid0(VALU_DEP_3) | instskip(SKIP_1) | instid1(VALU_DEP_3)
	v_add_f64 v[10:11], v[10:11], v[8:9]
	v_fma_f64 v[8:9], v[237:238], s[20:21], v[207:208]
	v_add_f64 v[150:151], v[150:151], -v[247:248]
	v_add_f64 v[205:206], v[205:206], v[4:5]
	v_fma_f64 v[4:5], v[237:238], s[34:35], v[207:208]
	v_mul_f64 v[207:208], v[209:210], s[10:11]
	v_mul_f64 v[247:248], v[229:230], s[0:1]
	v_add_f64 v[8:9], v[8:9], v[6:7]
	v_add_f64 v[6:7], v[12:13], v[10:11]
	v_mul_f64 v[10:11], v[193:194], s[18:19]
	v_mul_f64 v[12:13], v[189:190], s[18:19]
	v_add_f64 v[4:5], v[4:5], v[2:3]
	v_fma_f64 v[2:3], v[217:218], s[16:17], v[158:159]
	v_mul_f64 v[158:159], v[235:236], s[14:15]
	v_mul_f64 v[235:236], v[235:236], s[24:25]
	v_add_f64 v[10:11], v[245:246], v[10:11]
	v_add_f64 v[12:13], v[12:13], -v[241:242]
	v_mul_f64 v[241:242], v[229:230], s[18:19]
	v_add_f64 v[2:3], v[2:3], v[205:206]
	v_mul_f64 v[205:206], v[193:194], s[16:17]
	v_mul_f64 v[245:246], v[221:222], s[22:23]
	v_add_f64 v[10:11], v[10:11], v[16:17]
	v_add_f64 v[12:13], v[12:13], v[14:15]
	v_mul_f64 v[14:15], v[229:230], s[10:11]
	s_delay_alu instid0(VALU_DEP_3) | instskip(NEXT) | instid1(VALU_DEP_3)
	v_add_f64 v[10:11], v[20:21], v[10:11]
	v_add_f64 v[12:13], v[22:23], v[12:13]
	s_delay_alu instid0(VALU_DEP_3)
	v_add_f64 v[0:1], v[0:1], v[14:15]
	v_mul_f64 v[14:15], v[217:218], s[10:11]
	v_mul_f64 v[22:23], v[209:210], s[0:1]
	;; [unrolled: 1-line block ×4, first 2 shown]
	v_add_f64 v[10:11], v[148:149], v[10:11]
	v_add_f64 v[16:17], v[150:151], v[12:13]
	v_add_f64 v[14:15], v[14:15], -v[249:250]
	s_delay_alu instid0(VALU_DEP_3) | instskip(SKIP_1) | instid1(VALU_DEP_3)
	v_add_f64 v[12:13], v[0:1], v[10:11]
	v_mul_f64 v[0:1], v[193:194], s[22:23]
	v_add_f64 v[10:11], v[14:15], v[16:17]
	v_fma_f64 v[16:17], v[189:190], s[22:23], -v[20:21]
	v_fma_f64 v[20:21], v[189:190], s[22:23], v[20:21]
	s_delay_alu instid0(VALU_DEP_4) | instskip(SKIP_1) | instid1(VALU_DEP_4)
	v_fma_f64 v[14:15], v[203:204], s[26:27], v[0:1]
	v_fma_f64 v[0:1], v[203:204], s[24:25], v[0:1]
	v_add_f64 v[16:17], v[16:17], v[32:33]
	s_delay_alu instid0(VALU_DEP_4) | instskip(NEXT) | instid1(VALU_DEP_4)
	v_add_f64 v[20:21], v[20:21], v[195:196]
	v_add_f64 v[14:15], v[14:15], v[30:31]
	v_fma_f64 v[30:31], v[225:226], s[38:39], v[22:23]
	v_fma_f64 v[22:23], v[225:226], s[12:13], v[22:23]
	v_add_f64 v[0:1], v[0:1], v[191:192]
	s_delay_alu instid0(VALU_DEP_3) | instskip(SKIP_2) | instid1(VALU_DEP_4)
	v_add_f64 v[14:15], v[30:31], v[14:15]
	v_mul_f64 v[30:31], v[227:228], s[38:39]
	v_mul_f64 v[227:228], v[227:228], s[14:15]
	v_add_f64 v[0:1], v[22:23], v[0:1]
	s_delay_alu instid0(VALU_DEP_3) | instskip(SKIP_2) | instid1(VALU_DEP_3)
	v_fma_f64 v[32:33], v[197:198], s[0:1], -v[30:31]
	v_fma_f64 v[22:23], v[197:198], s[0:1], v[30:31]
	v_mul_f64 v[30:31], v[229:230], s[22:23]
	v_add_f64 v[16:17], v[32:33], v[16:17]
	v_mul_f64 v[32:33], v[221:222], s[10:11]
	s_delay_alu instid0(VALU_DEP_4) | instskip(SKIP_2) | instid1(VALU_DEP_4)
	v_add_f64 v[20:21], v[22:23], v[20:21]
	v_fma_f64 v[22:23], v[213:214], s[10:11], v[158:159]
	v_add_f64 v[30:31], v[231:232], v[30:31]
	v_fma_f64 v[148:149], v[233:234], s[14:15], v[32:33]
	s_delay_alu instid0(VALU_DEP_3) | instskip(SKIP_1) | instid1(VALU_DEP_3)
	v_add_f64 v[20:21], v[22:23], v[20:21]
	v_fma_f64 v[22:23], v[217:218], s[18:19], v[243:244]
	v_add_f64 v[14:15], v[148:149], v[14:15]
	v_fma_f64 v[148:149], v[213:214], s[10:11], -v[158:159]
	s_delay_alu instid0(VALU_DEP_1) | instskip(SKIP_1) | instid1(VALU_DEP_1)
	v_add_f64 v[148:149], v[148:149], v[16:17]
	v_fma_f64 v[16:17], v[237:238], s[28:29], v[241:242]
	v_add_f64 v[16:17], v[16:17], v[14:15]
	v_fma_f64 v[14:15], v[217:218], s[18:19], -v[243:244]
	s_delay_alu instid0(VALU_DEP_1) | instskip(SKIP_1) | instid1(VALU_DEP_1)
	;; [unrolled: 5-line block ×5, first 2 shown]
	v_add_f64 v[34:35], v[148:149], v[34:35]
	v_fma_f64 v[148:149], v[237:238], s[38:39], v[247:248]
	v_add_f64 v[150:151], v[148:149], v[24:25]
	v_fma_f64 v[24:25], v[217:218], s[0:1], -v[239:240]
	s_delay_alu instid0(VALU_DEP_1) | instskip(SKIP_2) | instid1(VALU_DEP_2)
	v_add_f64 v[148:149], v[24:25], v[34:35]
	v_fma_f64 v[24:25], v[203:204], s[20:21], v[205:206]
	v_fma_f64 v[34:35], v[217:218], s[0:1], v[239:240]
	v_add_f64 v[24:25], v[24:25], v[26:27]
	v_fma_f64 v[26:27], v[189:190], s[16:17], v[201:202]
	v_add_f64 v[201:202], v[22:23], v[20:21]
	s_clause 0x1
	scratch_load_b64 v[20:21], off, off offset:224
	scratch_load_b64 v[22:23], off, off offset:200
	v_add_f64 v[26:27], v[26:27], v[28:29]
	v_fma_f64 v[28:29], v[225:226], s[30:31], v[207:208]
	s_delay_alu instid0(VALU_DEP_1) | instskip(SKIP_1) | instid1(VALU_DEP_1)
	v_add_f64 v[24:25], v[28:29], v[24:25]
	v_fma_f64 v[28:29], v[197:198], s[10:11], v[227:228]
	v_add_f64 v[26:27], v[28:29], v[26:27]
	v_fma_f64 v[28:29], v[233:234], s[26:27], v[245:246]
	s_delay_alu instid0(VALU_DEP_1) | instskip(SKIP_1) | instid1(VALU_DEP_1)
	v_add_f64 v[24:25], v[28:29], v[24:25]
	v_fma_f64 v[28:29], v[213:214], s[22:23], v[235:236]
	v_add_f64 v[26:27], v[28:29], v[26:27]
	v_fma_f64 v[28:29], v[237:238], s[12:13], v[247:248]
	s_delay_alu instid0(VALU_DEP_2) | instskip(NEXT) | instid1(VALU_DEP_2)
	v_add_f64 v[205:206], v[34:35], v[26:27]
	v_add_f64 v[207:208], v[28:29], v[24:25]
	v_fma_f64 v[24:25], v[233:234], s[30:31], v[32:33]
	v_fma_f64 v[26:27], v[237:238], s[36:37], v[241:242]
	v_mul_f64 v[28:29], v[213:214], s[18:19]
	s_delay_alu instid0(VALU_DEP_3) | instskip(SKIP_1) | instid1(VALU_DEP_3)
	v_add_f64 v[0:1], v[24:25], v[0:1]
	v_mul_f64 v[24:25], v[197:198], s[16:17]
	v_add_f64 v[28:29], v[28:29], -v[215:216]
	s_delay_alu instid0(VALU_DEP_3) | instskip(SKIP_3) | instid1(VALU_DEP_1)
	v_add_f64 v[203:204], v[26:27], v[0:1]
	scratch_load_b64 v[26:27], off, off offset:192 ; 8-byte Folded Reload
	v_mul_f64 v[0:1], v[193:194], s[0:1]
	s_waitcnt vmcnt(2)
	v_add_f64 v[0:1], v[20:21], v[0:1]
	v_mul_f64 v[20:21], v[189:190], s[0:1]
	s_delay_alu instid0(VALU_DEP_2) | instskip(SKIP_1) | instid1(VALU_DEP_2)
	v_add_f64 v[0:1], v[0:1], v[199:200]
	s_waitcnt vmcnt(1)
	v_add_f64 v[20:21], v[20:21], -v[22:23]
	v_mul_f64 v[22:23], v[209:210], s[16:17]
	s_delay_alu instid0(VALU_DEP_2) | instskip(NEXT) | instid1(VALU_DEP_2)
	v_add_f64 v[20:21], v[20:21], v[156:157]
	v_add_f64 v[22:23], v[211:212], v[22:23]
	s_delay_alu instid0(VALU_DEP_1) | instskip(SKIP_1) | instid1(VALU_DEP_1)
	v_add_f64 v[0:1], v[22:23], v[0:1]
	v_mul_f64 v[22:23], v[217:218], s[22:23]
	v_add_f64 v[22:23], v[22:23], -v[219:220]
	s_waitcnt vmcnt(0)
	v_add_f64 v[24:25], v[24:25], -v[26:27]
	v_mul_f64 v[26:27], v[221:222], s[18:19]
	s_delay_alu instid0(VALU_DEP_2) | instskip(NEXT) | instid1(VALU_DEP_2)
	v_add_f64 v[20:21], v[24:25], v[20:21]
	v_add_f64 v[26:27], v[223:224], v[26:27]
	s_delay_alu instid0(VALU_DEP_2) | instskip(NEXT) | instid1(VALU_DEP_2)
	v_add_f64 v[20:21], v[28:29], v[20:21]
	v_add_f64 v[0:1], v[26:27], v[0:1]
	;; [unrolled: 3-line block ×3, first 2 shown]
	s_clause 0x2
	scratch_load_b64 v[0:1], off, off offset:208
	scratch_load_b64 v[20:21], off, off offset:216
	;; [unrolled: 1-line block ×3, first 2 shown]
	s_waitcnt vmcnt(2)
	v_add_f64 v[0:1], v[0:1], v[166:167]
	s_waitcnt vmcnt(1)
	v_add_f64 v[20:21], v[20:21], v[164:165]
	s_delay_alu instid0(VALU_DEP_2) | instskip(NEXT) | instid1(VALU_DEP_2)
	v_add_f64 v[0:1], v[0:1], v[170:171]
	v_add_f64 v[20:21], v[20:21], v[168:169]
	s_delay_alu instid0(VALU_DEP_2) | instskip(NEXT) | instid1(VALU_DEP_2)
	v_add_f64 v[0:1], v[0:1], v[178:179]
	;; [unrolled: 3-line block ×7, first 2 shown]
	v_add_f64 v[20:21], v[20:21], v[162:163]
	s_waitcnt vmcnt(0)
	s_delay_alu instid0(VALU_DEP_2)
	v_add_f64 v[154:155], v[0:1], v[22:23]
	scratch_load_b64 v[0:1], off, off offset:184 ; 8-byte Folded Reload
	s_waitcnt vmcnt(0)
	v_add_f64 v[152:153], v[20:21], v[0:1]
	ds_store_b128 v19, v[10:13] offset:3168
	ds_store_b128 v19, v[14:17] offset:4752
	;; [unrolled: 1-line block ×9, first 2 shown]
	ds_store_b128 v19, v[152:155]
	ds_store_b128 v19, v[144:147] offset:15840
.LBB0_9:
	s_or_b32 exec_lo, exec_lo, s33
	v_lshlrev_b32_e32 v0, 4, v18
	s_waitcnt lgkmcnt(0)
	s_waitcnt_vscnt null, 0x0
	s_barrier
	buffer_gl0_inv
	v_add_co_u32 v24, s0, s8, v0
	s_delay_alu instid0(VALU_DEP_1) | instskip(SKIP_1) | instid1(VALU_DEP_2)
	v_add_co_ci_u32_e64 v25, null, s9, 0, s0
	s_mov_b32 s9, 0x3febb67a
	v_add_co_u32 v0, s0, 0x4000, v24
	s_delay_alu instid0(VALU_DEP_1) | instskip(SKIP_1) | instid1(VALU_DEP_1)
	v_add_co_ci_u32_e64 v1, s0, 0, v25, s0
	v_add_co_u32 v16, s0, 0x4410, v24
	v_add_co_ci_u32_e64 v17, s0, 0, v25, s0
	v_add_co_u32 v4, s0, 0x5000, v24
	s_delay_alu instid0(VALU_DEP_1) | instskip(SKIP_1) | instid1(VALU_DEP_1)
	v_add_co_ci_u32_e64 v5, s0, 0, v25, s0
	v_add_co_u32 v20, s0, 0x7000, v24
	v_add_co_ci_u32_e64 v21, s0, 0, v25, s0
	v_add_co_u32 v22, s0, 0x6000, v24
	global_load_b128 v[0:3], v[0:1], off offset:1040
	v_add_co_ci_u32_e64 v23, s0, 0, v25, s0
	s_clause 0x4
	global_load_b128 v[4:7], v[4:5], off offset:2752
	global_load_b128 v[8:11], v[20:21], off offset:368
	;; [unrolled: 1-line block ×5, first 2 shown]
	v_add_co_u32 v20, s0, 0x8000, v24
	s_delay_alu instid0(VALU_DEP_1)
	v_add_co_ci_u32_e64 v21, s0, 0, v25, s0
	s_clause 0x2
	global_load_b128 v[156:159], v[16:17], off offset:3872
	global_load_b128 v[160:163], v[22:23], off offset:2528
	;; [unrolled: 1-line block ×3, first 2 shown]
	ds_load_b128 v[168:171], v19
	ds_load_b128 v[172:175], v19 offset:5808
	ds_load_b128 v[176:179], v19 offset:11616
	;; [unrolled: 1-line block ×8, first 2 shown]
	s_mov_b32 s0, 0xe8584caa
	s_mov_b32 s1, 0xbfebb67a
	s_mov_b32 s8, s0
	s_waitcnt vmcnt(7) lgkmcnt(7)
	v_mul_f64 v[20:21], v[174:175], v[6:7]
	v_mul_f64 v[16:17], v[170:171], v[2:3]
	;; [unrolled: 1-line block ×4, first 2 shown]
	s_waitcnt vmcnt(6) lgkmcnt(6)
	v_mul_f64 v[22:23], v[178:179], v[10:11]
	v_mul_f64 v[10:11], v[176:177], v[10:11]
	s_waitcnt vmcnt(5) lgkmcnt(5)
	v_mul_f64 v[24:25], v[182:183], v[14:15]
	v_mul_f64 v[26:27], v[180:181], v[14:15]
	;; [unrolled: 3-line block ×7, first 2 shown]
	v_fma_f64 v[14:15], v[168:169], v[0:1], -v[16:17]
	v_fma_f64 v[16:17], v[170:171], v[0:1], v[2:3]
	v_fma_f64 v[0:1], v[172:173], v[4:5], -v[20:21]
	v_fma_f64 v[2:3], v[174:175], v[4:5], v[6:7]
	;; [unrolled: 2-line block ×9, first 2 shown]
	ds_store_b128 v19, v[14:17]
	ds_store_b128 v19, v[8:11] offset:1936
	ds_store_b128 v19, v[4:7] offset:11616
	;; [unrolled: 1-line block ×8, first 2 shown]
	s_waitcnt lgkmcnt(0)
	s_barrier
	buffer_gl0_inv
	ds_load_b128 v[0:3], v19 offset:5808
	ds_load_b128 v[4:7], v19 offset:11616
	;; [unrolled: 1-line block ×7, first 2 shown]
	ds_load_b128 v[160:163], v19
	ds_load_b128 v[164:167], v19 offset:1936
	s_waitcnt lgkmcnt(0)
	s_barrier
	buffer_gl0_inv
	v_add_f64 v[20:21], v[2:3], v[6:7]
	v_add_f64 v[16:17], v[0:1], v[4:5]
	;; [unrolled: 1-line block ×3, first 2 shown]
	v_add_f64 v[32:33], v[2:3], -v[6:7]
	v_add_f64 v[28:29], v[150:151], v[154:155]
	v_add_f64 v[30:31], v[160:161], v[0:1]
	;; [unrolled: 1-line block ×3, first 2 shown]
	v_add_f64 v[0:1], v[0:1], -v[4:5]
	v_add_f64 v[170:171], v[166:167], v[14:15]
	v_add_f64 v[2:3], v[162:163], v[2:3]
	;; [unrolled: 1-line block ×4, first 2 shown]
	v_add_f64 v[182:183], v[148:149], -v[152:153]
	v_add_f64 v[22:23], v[12:13], v[8:9]
	v_add_f64 v[34:35], v[164:165], v[12:13]
	v_add_f64 v[14:15], v[14:15], -v[10:11]
	v_add_f64 v[12:13], v[12:13], -v[8:9]
	v_fma_f64 v[20:21], v[20:21], -0.5, v[162:163]
	v_fma_f64 v[16:17], v[16:17], -0.5, v[160:161]
	;; [unrolled: 1-line block ×3, first 2 shown]
	v_add_f64 v[166:167], v[150:151], -v[154:155]
	v_fma_f64 v[28:29], v[28:29], -0.5, v[158:159]
	v_add_f64 v[148:149], v[30:31], v[4:5]
	v_add_f64 v[154:155], v[174:175], v[154:155]
	v_add_f64 v[170:171], v[170:171], v[10:11]
	v_add_f64 v[150:151], v[2:3], v[6:7]
	v_add_f64 v[152:153], v[172:173], v[152:153]
	v_fma_f64 v[26:27], v[26:27], -0.5, v[156:157]
	v_fma_f64 v[22:23], v[22:23], -0.5, v[164:165]
	v_add_f64 v[168:169], v[34:35], v[8:9]
	v_fma_f64 v[178:179], v[0:1], s[8:9], v[20:21]
	v_fma_f64 v[174:175], v[0:1], s[0:1], v[20:21]
	scratch_load_b32 v0, off, off offset:168 ; 4-byte Folded Reload
	v_fma_f64 v[176:177], v[32:33], s[0:1], v[16:17]
	v_fma_f64 v[172:173], v[32:33], s[8:9], v[16:17]
	;; [unrolled: 1-line block ×4, first 2 shown]
	s_waitcnt vmcnt(0)
	ds_store_b128 v0, v[148:151]
	ds_store_b128 v0, v[176:179] offset:16
	ds_store_b128 v0, v[172:175] offset:32
	scratch_load_b32 v0, off, off offset:164 ; 4-byte Folded Reload
	v_fma_f64 v[160:161], v[14:15], s[0:1], v[22:23]
	v_fma_f64 v[156:157], v[14:15], s[8:9], v[22:23]
	;; [unrolled: 1-line block ×6, first 2 shown]
	s_waitcnt vmcnt(0)
	ds_store_b128 v0, v[168:171]
	ds_store_b128 v0, v[160:163] offset:16
	ds_store_b128 v0, v[156:159] offset:32
	scratch_load_b32 v0, off, off offset:160 ; 4-byte Folded Reload
	s_waitcnt vmcnt(0)
	ds_store_b128 v0, v[152:155]
	ds_store_b128 v0, v[164:167] offset:16
	ds_store_b128 v0, v[180:183] offset:32
	s_waitcnt lgkmcnt(0)
	s_barrier
	buffer_gl0_inv
	s_and_saveexec_b32 s0, vcc_lo
	s_cbranch_execz .LBB0_11
; %bb.10:
	ds_load_b128 v[148:151], v19
	ds_load_b128 v[176:179], v19 offset:1584
	ds_load_b128 v[172:175], v19 offset:3168
	;; [unrolled: 1-line block ×10, first 2 shown]
.LBB0_11:
	s_or_b32 exec_lo, exec_lo, s0
	s_waitcnt lgkmcnt(9)
	v_mul_f64 v[0:1], v[54:55], v[176:177]
	s_mov_b32 s16, 0xf8bb580b
	s_mov_b32 s17, 0xbfe14ced
	;; [unrolled: 1-line block ×18, first 2 shown]
	s_waitcnt lgkmcnt(0)
	s_barrier
	buffer_gl0_inv
	v_fma_f64 v[185:186], v[52:53], v[178:179], -v[0:1]
	v_mul_f64 v[0:1], v[54:55], v[178:179]
	s_delay_alu instid0(VALU_DEP_1) | instskip(SKIP_1) | instid1(VALU_DEP_1)
	v_fma_f64 v[187:188], v[52:53], v[176:177], v[0:1]
	v_mul_f64 v[0:1], v[78:79], v[144:145]
	v_fma_f64 v[52:53], v[76:77], v[146:147], -v[0:1]
	v_mul_f64 v[0:1], v[78:79], v[146:147]
	s_delay_alu instid0(VALU_DEP_2) | instskip(NEXT) | instid1(VALU_DEP_2)
	v_add_f64 v[213:214], v[185:186], -v[52:53]
	v_fma_f64 v[54:55], v[76:77], v[144:145], v[0:1]
	v_mul_f64 v[0:1], v[66:67], v[172:173]
	v_add_f64 v[10:11], v[185:186], v[52:53]
	s_delay_alu instid0(VALU_DEP_4) | instskip(NEXT) | instid1(VALU_DEP_4)
	v_mul_f64 v[4:5], v[213:214], s[16:17]
	v_add_f64 v[6:7], v[187:188], v[54:55]
	s_delay_alu instid0(VALU_DEP_4) | instskip(SKIP_4) | instid1(VALU_DEP_4)
	v_fma_f64 v[76:77], v[64:65], v[174:175], -v[0:1]
	v_mul_f64 v[0:1], v[66:67], v[174:175]
	v_add_f64 v[12:13], v[187:188], -v[54:55]
	v_mul_f64 v[8:9], v[10:11], s[8:9]
	v_mul_f64 v[16:17], v[10:11], s[0:1]
	v_fma_f64 v[78:79], v[64:65], v[172:173], v[0:1]
	v_mul_f64 v[0:1], v[70:71], v[140:141]
	s_delay_alu instid0(VALU_DEP_1) | instskip(SKIP_1) | instid1(VALU_DEP_1)
	v_fma_f64 v[64:65], v[68:69], v[142:143], -v[0:1]
	v_mul_f64 v[0:1], v[70:71], v[142:143]
	v_fma_f64 v[66:67], v[68:69], v[140:141], v[0:1]
	v_mul_f64 v[0:1], v[62:63], v[168:169]
	s_delay_alu instid0(VALU_DEP_2) | instskip(NEXT) | instid1(VALU_DEP_2)
	v_add_f64 v[144:145], v[78:79], v[66:67]
	v_fma_f64 v[68:69], v[60:61], v[170:171], -v[0:1]
	v_mul_f64 v[0:1], v[62:63], v[170:171]
	s_delay_alu instid0(VALU_DEP_1) | instskip(SKIP_1) | instid1(VALU_DEP_1)
	v_fma_f64 v[62:63], v[60:61], v[168:169], v[0:1]
	v_mul_f64 v[0:1], v[58:59], v[180:181]
	v_fma_f64 v[60:61], v[56:57], v[182:183], -v[0:1]
	v_mul_f64 v[0:1], v[58:59], v[182:183]
	v_add_f64 v[182:183], v[78:79], -v[66:67]
	s_delay_alu instid0(VALU_DEP_3) | instskip(NEXT) | instid1(VALU_DEP_3)
	v_add_f64 v[174:175], v[68:69], v[60:61]
	v_fma_f64 v[56:57], v[56:57], v[180:181], v[0:1]
	v_mul_f64 v[0:1], v[50:51], v[160:161]
	v_add_f64 v[180:181], v[68:69], -v[60:61]
	s_delay_alu instid0(VALU_DEP_4) | instskip(NEXT) | instid1(VALU_DEP_3)
	v_mul_f64 v[211:212], v[174:175], s[22:23]
	v_fma_f64 v[58:59], v[48:49], v[162:163], -v[0:1]
	v_mul_f64 v[0:1], v[50:51], v[162:163]
	v_add_f64 v[162:163], v[62:63], -v[56:57]
	v_mul_f64 v[203:204], v[180:181], s[26:27]
	s_delay_alu instid0(VALU_DEP_3) | instskip(SKIP_2) | instid1(VALU_DEP_2)
	v_fma_f64 v[50:51], v[48:49], v[160:161], v[0:1]
	v_mul_f64 v[0:1], v[46:47], v[164:165]
	v_add_f64 v[160:161], v[76:77], -v[64:65]
	v_fma_f64 v[48:49], v[44:45], v[166:167], -v[0:1]
	v_mul_f64 v[0:1], v[46:47], v[166:167]
	s_delay_alu instid0(VALU_DEP_3) | instskip(SKIP_1) | instid1(VALU_DEP_4)
	v_mul_f64 v[146:147], v[160:161], s[10:11]
	v_mul_f64 v[201:202], v[160:161], s[20:21]
	v_add_f64 v[195:196], v[58:59], -v[48:49]
	s_delay_alu instid0(VALU_DEP_4)
	v_fma_f64 v[44:45], v[44:45], v[164:165], v[0:1]
	v_mul_f64 v[0:1], v[42:43], v[156:157]
	v_fma_f64 v[2:3], v[144:145], s[0:1], -v[146:147]
	v_mul_f64 v[164:165], v[174:175], s[12:13]
	v_add_f64 v[193:194], v[58:59], v[48:49]
	v_mul_f64 v[168:169], v[195:196], s[20:21]
	v_add_f64 v[166:167], v[50:51], v[44:45]
	v_fma_f64 v[46:47], v[40:41], v[158:159], -v[0:1]
	v_mul_f64 v[0:1], v[42:43], v[158:159]
	v_add_f64 v[158:159], v[76:77], v[64:65]
	v_add_f64 v[176:177], v[50:51], -v[44:45]
	v_mul_f64 v[178:179], v[193:194], s[18:19]
	v_mul_f64 v[207:208], v[195:196], s[28:29]
	v_fma_f64 v[70:71], v[40:41], v[156:157], v[0:1]
	v_mul_f64 v[0:1], v[38:39], v[152:153]
	v_mul_f64 v[156:157], v[180:181], s[14:15]
	;; [unrolled: 1-line block ×3, first 2 shown]
	s_delay_alu instid0(VALU_DEP_3) | instskip(SKIP_2) | instid1(VALU_DEP_4)
	v_fma_f64 v[140:141], v[36:37], v[154:155], -v[0:1]
	v_mul_f64 v[0:1], v[38:39], v[154:155]
	v_add_f64 v[154:155], v[62:63], v[56:57]
	v_fma_f64 v[20:21], v[182:183], s[20:21], v[205:206]
	s_delay_alu instid0(VALU_DEP_4) | instskip(NEXT) | instid1(VALU_DEP_4)
	v_add_f64 v[199:200], v[46:47], -v[140:141]
	v_fma_f64 v[142:143], v[36:37], v[152:153], v[0:1]
	v_fma_f64 v[0:1], v[6:7], s[8:9], -v[4:5]
	v_mul_f64 v[152:153], v[158:159], s[0:1]
	v_add_f64 v[197:198], v[46:47], v[140:141]
	v_mul_f64 v[172:173], v[199:200], s[24:25]
	v_add_f64 v[170:171], v[70:71], v[142:143]
	v_add_f64 v[0:1], v[148:149], v[0:1]
	v_fma_f64 v[14:15], v[182:183], s[10:11], v[152:153]
	v_add_f64 v[189:190], v[70:71], -v[142:143]
	v_mul_f64 v[191:192], v[197:198], s[22:23]
	v_mul_f64 v[209:210], v[199:200], s[30:31]
	v_add_f64 v[0:1], v[2:3], v[0:1]
	v_fma_f64 v[2:3], v[12:13], s[16:17], v[8:9]
	s_delay_alu instid0(VALU_DEP_1) | instskip(NEXT) | instid1(VALU_DEP_1)
	v_add_f64 v[2:3], v[150:151], v[2:3]
	v_add_f64 v[2:3], v[14:15], v[2:3]
	v_fma_f64 v[14:15], v[154:155], s[12:13], -v[156:157]
	s_delay_alu instid0(VALU_DEP_1) | instskip(SKIP_1) | instid1(VALU_DEP_1)
	v_add_f64 v[0:1], v[14:15], v[0:1]
	v_fma_f64 v[14:15], v[162:163], s[14:15], v[164:165]
	v_add_f64 v[2:3], v[14:15], v[2:3]
	v_fma_f64 v[14:15], v[166:167], s[18:19], -v[168:169]
	s_delay_alu instid0(VALU_DEP_1) | instskip(SKIP_1) | instid1(VALU_DEP_1)
	v_add_f64 v[0:1], v[14:15], v[0:1]
	v_fma_f64 v[14:15], v[176:177], s[20:21], v[178:179]
	v_add_f64 v[2:3], v[14:15], v[2:3]
	v_fma_f64 v[14:15], v[170:171], s[22:23], -v[172:173]
	s_delay_alu instid0(VALU_DEP_1) | instskip(SKIP_2) | instid1(VALU_DEP_2)
	v_add_f64 v[36:37], v[14:15], v[0:1]
	v_fma_f64 v[0:1], v[189:190], s[24:25], v[191:192]
	v_mul_f64 v[14:15], v[213:214], s[10:11]
	v_add_f64 v[38:39], v[0:1], v[2:3]
	s_delay_alu instid0(VALU_DEP_2) | instskip(SKIP_1) | instid1(VALU_DEP_2)
	v_fma_f64 v[0:1], v[6:7], s[0:1], -v[14:15]
	v_fma_f64 v[2:3], v[144:145], s[18:19], -v[201:202]
	v_add_f64 v[0:1], v[148:149], v[0:1]
	s_delay_alu instid0(VALU_DEP_1) | instskip(SKIP_1) | instid1(VALU_DEP_1)
	v_add_f64 v[0:1], v[2:3], v[0:1]
	v_fma_f64 v[2:3], v[12:13], s[10:11], v[16:17]
	v_add_f64 v[2:3], v[150:151], v[2:3]
	s_delay_alu instid0(VALU_DEP_1) | instskip(SKIP_1) | instid1(VALU_DEP_1)
	v_add_f64 v[2:3], v[20:21], v[2:3]
	v_fma_f64 v[20:21], v[154:155], s[22:23], -v[203:204]
	v_add_f64 v[0:1], v[20:21], v[0:1]
	v_fma_f64 v[20:21], v[162:163], s[26:27], v[211:212]
	s_delay_alu instid0(VALU_DEP_1) | instskip(SKIP_1) | instid1(VALU_DEP_1)
	v_add_f64 v[2:3], v[20:21], v[2:3]
	v_fma_f64 v[20:21], v[166:167], s[12:13], -v[207:208]
	v_add_f64 v[20:21], v[20:21], v[0:1]
	v_mul_f64 v[0:1], v[193:194], s[12:13]
	s_delay_alu instid0(VALU_DEP_1) | instskip(NEXT) | instid1(VALU_DEP_1)
	v_fma_f64 v[22:23], v[176:177], s[28:29], v[0:1]
	v_add_f64 v[22:23], v[22:23], v[2:3]
	v_fma_f64 v[2:3], v[170:171], s[8:9], -v[209:210]
	s_delay_alu instid0(VALU_DEP_1) | instskip(SKIP_1) | instid1(VALU_DEP_1)
	v_add_f64 v[40:41], v[2:3], v[20:21]
	v_mul_f64 v[2:3], v[197:198], s[8:9]
	v_fma_f64 v[20:21], v[189:190], s[30:31], v[2:3]
	s_delay_alu instid0(VALU_DEP_1)
	v_add_f64 v[42:43], v[20:21], v[22:23]
	s_and_saveexec_b32 s33, vcc_lo
	s_cbranch_execz .LBB0_13
; %bb.12:
	v_mul_f64 v[20:21], v[12:13], s[10:11]
	v_mul_f64 v[24:25], v[12:13], s[20:21]
	;; [unrolled: 1-line block ×4, first 2 shown]
	v_add_f64 v[187:188], v[148:149], v[187:188]
	v_add_f64 v[185:186], v[150:151], v[185:186]
	v_mul_f64 v[221:222], v[182:183], s[10:11]
	s_mov_b32 s11, 0x3fed1bb4
	v_mul_f64 v[227:228], v[189:190], s[14:15]
	v_mul_f64 v[229:230], v[199:200], s[14:15]
	v_add_f64 v[16:17], v[16:17], -v[20:21]
	v_mul_f64 v[20:21], v[6:7], s[0:1]
	v_fma_f64 v[26:27], v[10:11], s[18:19], v[24:25]
	v_fma_f64 v[24:25], v[10:11], s[18:19], -v[24:25]
	v_fma_f64 v[30:31], v[10:11], s[12:13], -v[28:29]
	v_fma_f64 v[215:216], v[6:7], s[12:13], v[32:33]
	v_fma_f64 v[32:33], v[6:7], s[12:13], -v[32:33]
	v_add_f64 v[16:17], v[150:151], v[16:17]
	v_add_f64 v[14:15], v[20:21], v[14:15]
	v_mul_f64 v[20:21], v[12:13], s[24:25]
	v_mul_f64 v[12:13], v[12:13], s[16:17]
	v_add_f64 v[26:27], v[150:151], v[26:27]
	v_add_f64 v[24:25], v[150:151], v[24:25]
	;; [unrolled: 1-line block ×5, first 2 shown]
	v_fma_f64 v[22:23], v[10:11], s[22:23], v[20:21]
	v_fma_f64 v[20:21], v[10:11], s[22:23], -v[20:21]
	v_fma_f64 v[10:11], v[10:11], s[12:13], v[28:29]
	v_add_f64 v[8:9], v[8:9], -v[12:13]
	v_mul_f64 v[12:13], v[213:214], s[24:25]
	v_mul_f64 v[28:29], v[213:214], s[20:21]
	v_add_f64 v[20:21], v[150:151], v[20:21]
	s_delay_alu instid0(VALU_DEP_4) | instskip(NEXT) | instid1(VALU_DEP_4)
	v_add_f64 v[217:218], v[150:151], v[8:9]
	v_fma_f64 v[34:35], v[6:7], s[22:23], -v[12:13]
	v_fma_f64 v[12:13], v[6:7], s[22:23], v[12:13]
	v_fma_f64 v[213:214], v[6:7], s[18:19], v[28:29]
	v_fma_f64 v[28:29], v[6:7], s[18:19], -v[28:29]
	v_mul_f64 v[6:7], v[6:7], s[8:9]
	v_mul_f64 v[8:9], v[182:183], s[30:31]
	v_add_f64 v[12:13], v[148:149], v[12:13]
	v_add_f64 v[213:214], v[148:149], v[213:214]
	;; [unrolled: 1-line block ×8, first 2 shown]
	v_mul_f64 v[10:11], v[160:161], s[30:31]
	v_add_f64 v[219:220], v[148:149], v[4:5]
	v_fma_f64 v[4:5], v[158:159], s[8:9], v[8:9]
	v_fma_f64 v[8:9], v[158:159], s[8:9], -v[8:9]
	s_delay_alu instid0(VALU_DEP_2) | instskip(SKIP_2) | instid1(VALU_DEP_4)
	v_add_f64 v[4:5], v[4:5], v[6:7]
	v_fma_f64 v[6:7], v[144:145], s[8:9], -v[10:11]
	v_fma_f64 v[10:11], v[144:145], s[8:9], v[10:11]
	v_add_f64 v[8:9], v[8:9], v[20:21]
	v_fma_f64 v[20:21], v[170:171], s[12:13], v[229:230]
	s_delay_alu instid0(VALU_DEP_4) | instskip(SKIP_2) | instid1(VALU_DEP_2)
	v_add_f64 v[6:7], v[6:7], v[22:23]
	v_mul_f64 v[22:23], v[162:163], s[20:21]
	v_add_f64 v[10:11], v[10:11], v[12:13]
	v_fma_f64 v[148:149], v[174:175], s[18:19], v[22:23]
	v_fma_f64 v[12:13], v[174:175], s[18:19], -v[22:23]
	v_mul_f64 v[22:23], v[162:163], s[26:27]
	s_delay_alu instid0(VALU_DEP_3) | instskip(SKIP_1) | instid1(VALU_DEP_4)
	v_add_f64 v[4:5], v[148:149], v[4:5]
	v_mul_f64 v[148:149], v[180:181], s[20:21]
	v_add_f64 v[8:9], v[12:13], v[8:9]
	s_delay_alu instid0(VALU_DEP_4) | instskip(SKIP_1) | instid1(VALU_DEP_4)
	v_add_f64 v[22:23], v[211:212], -v[22:23]
	v_mul_f64 v[211:212], v[189:190], s[10:11]
	v_fma_f64 v[150:151], v[154:155], s[18:19], -v[148:149]
	v_fma_f64 v[12:13], v[154:155], s[18:19], v[148:149]
	v_mul_f64 v[148:149], v[154:155], s[22:23]
	s_delay_alu instid0(VALU_DEP_3) | instskip(SKIP_1) | instid1(VALU_DEP_4)
	v_add_f64 v[6:7], v[150:151], v[6:7]
	v_mul_f64 v[150:151], v[176:177], s[10:11]
	v_add_f64 v[10:11], v[12:13], v[10:11]
	s_delay_alu instid0(VALU_DEP_4) | instskip(SKIP_1) | instid1(VALU_DEP_4)
	v_add_f64 v[148:149], v[148:149], v[203:204]
	v_mul_f64 v[203:204], v[189:190], s[20:21]
	v_fma_f64 v[223:224], v[193:194], s[0:1], v[150:151]
	v_fma_f64 v[12:13], v[193:194], s[0:1], -v[150:151]
	v_mul_f64 v[150:151], v[176:177], s[28:29]
	s_delay_alu instid0(VALU_DEP_3) | instskip(SKIP_1) | instid1(VALU_DEP_4)
	v_add_f64 v[4:5], v[223:224], v[4:5]
	v_mul_f64 v[223:224], v[195:196], s[10:11]
	v_add_f64 v[8:9], v[12:13], v[8:9]
	s_delay_alu instid0(VALU_DEP_4) | instskip(SKIP_1) | instid1(VALU_DEP_4)
	v_add_f64 v[0:1], v[0:1], -v[150:151]
	v_mul_f64 v[150:151], v[166:167], s[12:13]
	v_fma_f64 v[12:13], v[166:167], s[0:1], v[223:224]
	v_fma_f64 v[225:226], v[166:167], s[0:1], -v[223:224]
	s_delay_alu instid0(VALU_DEP_3) | instskip(SKIP_1) | instid1(VALU_DEP_4)
	v_add_f64 v[150:151], v[150:151], v[207:208]
	v_mul_f64 v[207:208], v[162:163], s[16:17]
	v_add_f64 v[12:13], v[12:13], v[10:11]
	v_fma_f64 v[10:11], v[197:198], s[12:13], -v[227:228]
	v_add_f64 v[225:226], v[225:226], v[6:7]
	v_fma_f64 v[6:7], v[197:198], s[12:13], v[227:228]
	s_delay_alu instid0(VALU_DEP_3)
	v_add_f64 v[10:11], v[10:11], v[8:9]
	v_add_f64 v[8:9], v[20:21], v[12:13]
	v_mul_f64 v[12:13], v[182:183], s[20:21]
	v_mul_f64 v[20:21], v[144:145], s[18:19]
	v_add_f64 v[6:7], v[6:7], v[4:5]
	v_fma_f64 v[4:5], v[170:171], s[12:13], -v[229:230]
	s_delay_alu instid0(VALU_DEP_4) | instskip(NEXT) | instid1(VALU_DEP_4)
	v_add_f64 v[12:13], v[205:206], -v[12:13]
	v_add_f64 v[20:21], v[20:21], v[201:202]
	v_mul_f64 v[201:202], v[195:196], s[16:17]
	v_mul_f64 v[205:206], v[199:200], s[20:21]
	;; [unrolled: 1-line block ×4, first 2 shown]
	v_add_f64 v[4:5], v[4:5], v[225:226]
	v_add_f64 v[12:13], v[12:13], v[16:17]
	;; [unrolled: 1-line block ×3, first 2 shown]
	v_mul_f64 v[16:17], v[189:190], s[30:31]
	v_mul_f64 v[20:21], v[160:161], s[26:27]
	;; [unrolled: 1-line block ×3, first 2 shown]
	v_add_f64 v[12:13], v[22:23], v[12:13]
	v_add_f64 v[14:15], v[148:149], v[14:15]
	v_add_f64 v[2:3], v[2:3], -v[16:17]
	v_mul_f64 v[16:17], v[170:171], s[8:9]
	v_mul_f64 v[22:23], v[162:163], s[10:11]
	v_add_f64 v[0:1], v[0:1], v[12:13]
	v_add_f64 v[12:13], v[150:151], v[14:15]
	v_fma_f64 v[14:15], v[144:145], s[22:23], v[20:21]
	v_add_f64 v[16:17], v[16:17], v[209:210]
	v_fma_f64 v[150:151], v[174:175], s[8:9], -v[207:208]
	v_mul_f64 v[209:210], v[176:177], s[24:25]
	v_fma_f64 v[20:21], v[144:145], s[22:23], -v[20:21]
	v_add_f64 v[2:3], v[2:3], v[0:1]
	v_add_f64 v[14:15], v[14:15], v[34:35]
	;; [unrolled: 1-line block ×3, first 2 shown]
	v_mul_f64 v[16:17], v[182:183], s[26:27]
	v_mul_f64 v[182:183], v[182:183], s[28:29]
	v_add_f64 v[20:21], v[20:21], v[32:33]
	s_delay_alu instid0(VALU_DEP_3) | instskip(SKIP_1) | instid1(VALU_DEP_2)
	v_fma_f64 v[12:13], v[158:159], s[22:23], -v[16:17]
	v_fma_f64 v[16:17], v[158:159], s[22:23], v[16:17]
	v_add_f64 v[12:13], v[12:13], v[30:31]
	v_fma_f64 v[30:31], v[174:175], s[0:1], -v[22:23]
	v_fma_f64 v[22:23], v[174:175], s[0:1], v[22:23]
	s_delay_alu instid0(VALU_DEP_4) | instskip(NEXT) | instid1(VALU_DEP_3)
	v_add_f64 v[16:17], v[16:17], v[215:216]
	v_add_f64 v[12:13], v[30:31], v[12:13]
	v_mul_f64 v[30:31], v[180:181], s[10:11]
	v_mul_f64 v[180:181], v[180:181], s[16:17]
	s_delay_alu instid0(VALU_DEP_4) | instskip(NEXT) | instid1(VALU_DEP_3)
	v_add_f64 v[16:17], v[22:23], v[16:17]
	v_fma_f64 v[34:35], v[154:155], s[0:1], v[30:31]
	v_fma_f64 v[22:23], v[154:155], s[0:1], -v[30:31]
	v_mul_f64 v[30:31], v[189:190], s[24:25]
	s_delay_alu instid0(VALU_DEP_3) | instskip(SKIP_1) | instid1(VALU_DEP_4)
	v_add_f64 v[14:15], v[34:35], v[14:15]
	v_mul_f64 v[34:35], v[176:177], s[16:17]
	v_add_f64 v[20:21], v[22:23], v[20:21]
	v_fma_f64 v[22:23], v[166:167], s[8:9], -v[201:202]
	v_add_f64 v[30:31], v[191:192], -v[30:31]
	s_delay_alu instid0(VALU_DEP_4) | instskip(NEXT) | instid1(VALU_DEP_3)
	v_fma_f64 v[148:149], v[193:194], s[8:9], -v[34:35]
	v_add_f64 v[20:21], v[22:23], v[20:21]
	v_fma_f64 v[22:23], v[170:171], s[18:19], -v[205:206]
	s_delay_alu instid0(VALU_DEP_3) | instskip(SKIP_1) | instid1(VALU_DEP_1)
	v_add_f64 v[12:13], v[148:149], v[12:13]
	v_fma_f64 v[148:149], v[166:167], s[8:9], v[201:202]
	v_add_f64 v[148:149], v[148:149], v[14:15]
	v_fma_f64 v[14:15], v[197:198], s[18:19], -v[203:204]
	s_delay_alu instid0(VALU_DEP_1) | instskip(SKIP_1) | instid1(VALU_DEP_1)
	v_add_f64 v[14:15], v[14:15], v[12:13]
	v_fma_f64 v[12:13], v[170:171], s[18:19], v[205:206]
	v_add_f64 v[12:13], v[12:13], v[148:149]
	v_fma_f64 v[148:149], v[158:159], s[12:13], -v[182:183]
	s_delay_alu instid0(VALU_DEP_1) | instskip(SKIP_1) | instid1(VALU_DEP_2)
	v_add_f64 v[24:25], v[148:149], v[24:25]
	v_fma_f64 v[148:149], v[144:145], s[12:13], v[160:161]
	v_add_f64 v[24:25], v[150:151], v[24:25]
	s_delay_alu instid0(VALU_DEP_2) | instskip(SKIP_1) | instid1(VALU_DEP_1)
	v_add_f64 v[148:149], v[148:149], v[213:214]
	v_fma_f64 v[150:151], v[154:155], s[8:9], v[180:181]
	v_add_f64 v[148:149], v[150:151], v[148:149]
	v_fma_f64 v[150:151], v[193:194], s[22:23], -v[209:210]
	s_delay_alu instid0(VALU_DEP_1) | instskip(SKIP_1) | instid1(VALU_DEP_1)
	v_add_f64 v[24:25], v[150:151], v[24:25]
	v_fma_f64 v[150:151], v[166:167], s[22:23], v[195:196]
	v_add_f64 v[148:149], v[150:151], v[148:149]
	v_fma_f64 v[150:151], v[197:198], s[0:1], -v[211:212]
	s_delay_alu instid0(VALU_DEP_1) | instskip(SKIP_1) | instid1(VALU_DEP_1)
	v_add_f64 v[150:151], v[150:151], v[24:25]
	v_fma_f64 v[24:25], v[170:171], s[0:1], v[199:200]
	v_add_f64 v[148:149], v[24:25], v[148:149]
	v_fma_f64 v[24:25], v[158:159], s[12:13], v[182:183]
	v_add_f64 v[158:159], v[22:23], v[20:21]
	v_mul_f64 v[22:23], v[162:163], s[14:15]
	v_mul_f64 v[20:21], v[144:145], s[0:1]
	s_delay_alu instid0(VALU_DEP_4) | instskip(SKIP_4) | instid1(VALU_DEP_4)
	v_add_f64 v[24:25], v[24:25], v[26:27]
	v_fma_f64 v[26:27], v[144:145], s[12:13], -v[160:161]
	v_fma_f64 v[160:161], v[170:171], s[0:1], -v[199:200]
	v_add_f64 v[22:23], v[164:165], -v[22:23]
	v_add_f64 v[20:21], v[20:21], v[146:147]
	v_add_f64 v[26:27], v[26:27], v[28:29]
	v_fma_f64 v[28:29], v[174:175], s[8:9], v[207:208]
	s_delay_alu instid0(VALU_DEP_3) | instskip(NEXT) | instid1(VALU_DEP_2)
	v_add_f64 v[20:21], v[20:21], v[219:220]
	v_add_f64 v[24:25], v[28:29], v[24:25]
	v_fma_f64 v[28:29], v[154:155], s[8:9], -v[180:181]
	s_delay_alu instid0(VALU_DEP_1) | instskip(SKIP_1) | instid1(VALU_DEP_1)
	v_add_f64 v[26:27], v[28:29], v[26:27]
	v_fma_f64 v[28:29], v[193:194], s[22:23], v[209:210]
	v_add_f64 v[24:25], v[28:29], v[24:25]
	v_fma_f64 v[28:29], v[166:167], s[22:23], -v[195:196]
	s_delay_alu instid0(VALU_DEP_1) | instskip(SKIP_1) | instid1(VALU_DEP_2)
	v_add_f64 v[26:27], v[28:29], v[26:27]
	v_fma_f64 v[28:29], v[197:198], s[0:1], v[211:212]
	v_add_f64 v[180:181], v[160:161], v[26:27]
	s_delay_alu instid0(VALU_DEP_2) | instskip(SKIP_3) | instid1(VALU_DEP_3)
	v_add_f64 v[182:183], v[28:29], v[24:25]
	v_fma_f64 v[24:25], v[193:194], s[8:9], v[34:35]
	v_fma_f64 v[26:27], v[197:198], s[18:19], v[203:204]
	v_mul_f64 v[28:29], v[166:167], s[18:19]
	v_add_f64 v[16:17], v[24:25], v[16:17]
	v_mul_f64 v[24:25], v[154:155], s[12:13]
	s_delay_alu instid0(VALU_DEP_3) | instskip(NEXT) | instid1(VALU_DEP_3)
	v_add_f64 v[28:29], v[28:29], v[168:169]
	v_add_f64 v[160:161], v[26:27], v[16:17]
	v_add_f64 v[16:17], v[152:153], -v[221:222]
	v_mul_f64 v[26:27], v[176:177], s[20:21]
	v_add_f64 v[24:25], v[24:25], v[156:157]
	s_delay_alu instid0(VALU_DEP_3) | instskip(NEXT) | instid1(VALU_DEP_3)
	v_add_f64 v[16:17], v[16:17], v[217:218]
	v_add_f64 v[26:27], v[178:179], -v[26:27]
	s_delay_alu instid0(VALU_DEP_3) | instskip(NEXT) | instid1(VALU_DEP_3)
	v_add_f64 v[20:21], v[24:25], v[20:21]
	v_add_f64 v[16:17], v[22:23], v[16:17]
	v_mul_f64 v[22:23], v[170:171], s[22:23]
	s_delay_alu instid0(VALU_DEP_3) | instskip(NEXT) | instid1(VALU_DEP_3)
	v_add_f64 v[20:21], v[28:29], v[20:21]
	v_add_f64 v[16:17], v[26:27], v[16:17]
	s_delay_alu instid0(VALU_DEP_3) | instskip(NEXT) | instid1(VALU_DEP_2)
	v_add_f64 v[22:23], v[22:23], v[172:173]
	v_add_f64 v[146:147], v[30:31], v[16:17]
	;; [unrolled: 1-line block ×3, first 2 shown]
	s_delay_alu instid0(VALU_DEP_3) | instskip(SKIP_1) | instid1(VALU_DEP_3)
	v_add_f64 v[144:145], v[22:23], v[20:21]
	v_add_f64 v[20:21], v[187:188], v[78:79]
	;; [unrolled: 1-line block ×3, first 2 shown]
	s_delay_alu instid0(VALU_DEP_2) | instskip(NEXT) | instid1(VALU_DEP_2)
	v_add_f64 v[20:21], v[20:21], v[62:63]
	v_add_f64 v[16:17], v[16:17], v[58:59]
	s_delay_alu instid0(VALU_DEP_2) | instskip(NEXT) | instid1(VALU_DEP_2)
	v_add_f64 v[20:21], v[20:21], v[50:51]
	v_add_f64 v[16:17], v[16:17], v[46:47]
	s_delay_alu instid0(VALU_DEP_2) | instskip(NEXT) | instid1(VALU_DEP_2)
	v_add_f64 v[20:21], v[20:21], v[70:71]
	v_add_f64 v[16:17], v[16:17], v[140:141]
	s_delay_alu instid0(VALU_DEP_2) | instskip(NEXT) | instid1(VALU_DEP_2)
	v_add_f64 v[20:21], v[20:21], v[142:143]
	v_add_f64 v[16:17], v[16:17], v[48:49]
	s_delay_alu instid0(VALU_DEP_2) | instskip(NEXT) | instid1(VALU_DEP_2)
	v_add_f64 v[20:21], v[20:21], v[44:45]
	v_add_f64 v[16:17], v[16:17], v[60:61]
	s_delay_alu instid0(VALU_DEP_2) | instskip(NEXT) | instid1(VALU_DEP_2)
	v_add_f64 v[20:21], v[20:21], v[56:57]
	v_add_f64 v[16:17], v[16:17], v[64:65]
	s_delay_alu instid0(VALU_DEP_2) | instskip(NEXT) | instid1(VALU_DEP_2)
	v_add_f64 v[20:21], v[20:21], v[66:67]
	v_add_f64 v[46:47], v[16:17], v[52:53]
	s_clause 0x1
	scratch_load_b32 v16, off, off offset:156
	scratch_load_b32 v17, off, off offset:152
	v_add_f64 v[44:45], v[20:21], v[54:55]
	s_waitcnt vmcnt(1)
	v_mul_u32_u24_e32 v16, 33, v16
	s_waitcnt vmcnt(0)
	s_delay_alu instid0(VALU_DEP_1)
	v_add_lshl_u32 v16, v16, v17, 4
	ds_store_b128 v16, v[0:3] offset:96
	ds_store_b128 v16, v[12:15] offset:144
	;; [unrolled: 1-line block ×9, first 2 shown]
	ds_store_b128 v16, v[44:47]
	ds_store_b128 v16, v[36:39] offset:480
.LBB0_13:
	s_or_b32 exec_lo, exec_lo, s33
	s_waitcnt lgkmcnt(0)
	s_barrier
	buffer_gl0_inv
	ds_load_b128 v[0:3], v19 offset:5808
	ds_load_b128 v[4:7], v19 offset:11616
	;; [unrolled: 1-line block ×7, first 2 shown]
	s_mov_b32 s0, 0xe8584caa
	s_mov_b32 s1, 0xbfebb67a
	;; [unrolled: 1-line block ×4, first 2 shown]
	s_waitcnt lgkmcnt(6)
	v_mul_f64 v[16:17], v[86:87], v[2:3]
	s_waitcnt lgkmcnt(5)
	v_mul_f64 v[20:21], v[82:83], v[6:7]
	v_mul_f64 v[22:23], v[86:87], v[0:1]
	v_mul_f64 v[24:25], v[82:83], v[4:5]
	s_waitcnt lgkmcnt(4)
	v_mul_f64 v[26:27], v[94:95], v[10:11]
	s_waitcnt lgkmcnt(3)
	v_mul_f64 v[28:29], v[90:91], v[14:15]
	v_mul_f64 v[30:31], v[94:95], v[8:9]
	v_mul_f64 v[32:33], v[90:91], v[12:13]
	;; [unrolled: 6-line block ×3, first 2 shown]
	v_fma_f64 v[16:17], v[84:85], v[0:1], v[16:17]
	v_fma_f64 v[20:21], v[80:81], v[4:5], v[20:21]
	v_fma_f64 v[22:23], v[84:85], v[2:3], -v[22:23]
	v_fma_f64 v[24:25], v[80:81], v[6:7], -v[24:25]
	v_fma_f64 v[8:9], v[92:93], v[8:9], v[26:27]
	v_fma_f64 v[12:13], v[88:89], v[12:13], v[28:29]
	v_fma_f64 v[10:11], v[92:93], v[10:11], -v[30:31]
	v_fma_f64 v[14:15], v[88:89], v[14:15], -v[32:33]
	;; [unrolled: 4-line block ×3, first 2 shown]
	ds_load_b128 v[0:3], v19
	ds_load_b128 v[4:7], v19 offset:1936
	s_waitcnt lgkmcnt(0)
	s_barrier
	buffer_gl0_inv
	v_add_f64 v[58:59], v[0:1], v[16:17]
	v_add_f64 v[34:35], v[16:17], v[20:21]
	v_add_f64 v[16:17], v[16:17], -v[20:21]
	v_add_f64 v[44:45], v[22:23], v[24:25]
	v_add_f64 v[60:61], v[22:23], -v[24:25]
	v_add_f64 v[46:47], v[8:9], v[12:13]
	v_add_f64 v[22:23], v[2:3], v[22:23]
	;; [unrolled: 1-line block ×7, first 2 shown]
	v_add_f64 v[10:11], v[10:11], -v[14:15]
	v_add_f64 v[8:9], v[8:9], -v[12:13]
	v_add_f64 v[66:67], v[52:53], v[26:27]
	v_add_f64 v[70:71], v[54:55], v[30:31]
	v_add_f64 v[30:31], v[30:31], -v[32:33]
	v_add_f64 v[26:27], v[26:27], -v[28:29]
	v_fma_f64 v[0:1], v[34:35], -0.5, v[0:1]
	v_fma_f64 v[2:3], v[44:45], -0.5, v[2:3]
	v_add_f64 v[44:45], v[58:59], v[20:21]
	v_fma_f64 v[4:5], v[46:47], -0.5, v[4:5]
	v_add_f64 v[46:47], v[22:23], v[24:25]
	v_fma_f64 v[6:7], v[48:49], -0.5, v[6:7]
	v_fma_f64 v[34:35], v[50:51], -0.5, v[52:53]
	v_add_f64 v[58:59], v[64:65], v[14:15]
	v_fma_f64 v[82:83], v[56:57], -0.5, v[54:55]
	v_add_f64 v[56:57], v[62:63], v[12:13]
	v_add_f64 v[68:69], v[66:67], v[28:29]
	;; [unrolled: 1-line block ×3, first 2 shown]
	v_fma_f64 v[52:53], v[60:61], s[0:1], v[0:1]
	v_fma_f64 v[48:49], v[60:61], s[8:9], v[0:1]
	;; [unrolled: 1-line block ×12, first 2 shown]
	ds_store_b128 v184, v[44:47]
	ds_store_b128 v184, v[52:55] offset:528
	ds_store_b128 v184, v[48:51] offset:1056
	ds_store_b128 v255, v[56:59]
	ds_store_b128 v255, v[60:63] offset:528
	ds_store_b128 v255, v[64:67] offset:1056
	scratch_load_b32 v0, off, off offset:172 ; 4-byte Folded Reload
	s_waitcnt vmcnt(0)
	ds_store_b128 v0, v[68:71]
	ds_store_b128 v0, v[76:79] offset:528
	ds_store_b128 v0, v[80:83] offset:1056
	s_waitcnt lgkmcnt(0)
	s_barrier
	buffer_gl0_inv
	s_and_saveexec_b32 s0, vcc_lo
	s_cbranch_execz .LBB0_15
; %bb.14:
	ds_load_b128 v[44:47], v19
	ds_load_b128 v[52:55], v19 offset:1584
	ds_load_b128 v[48:51], v19 offset:3168
	;; [unrolled: 1-line block ×10, first 2 shown]
.LBB0_15:
	s_or_b32 exec_lo, exec_lo, s0
	s_and_saveexec_b32 s16, vcc_lo
	s_cbranch_execz .LBB0_17
; %bb.16:
	s_waitcnt lgkmcnt(9)
	v_mul_f64 v[0:1], v[74:75], v[52:53]
	v_mul_f64 v[2:3], v[74:75], v[54:55]
	s_waitcnt lgkmcnt(3)
	v_mul_f64 v[20:21], v[130:131], v[76:77]
	s_waitcnt lgkmcnt(2)
	v_mul_f64 v[24:25], v[122:123], v[82:83]
	v_mul_f64 v[26:27], v[106:107], v[50:51]
	s_waitcnt lgkmcnt(1)
	v_mul_f64 v[28:29], v[114:115], v[42:43]
	;; [unrolled: 3-line block ×3, first 2 shown]
	v_mul_f64 v[86:87], v[110:111], v[36:37]
	v_mul_f64 v[4:5], v[134:135], v[66:67]
	v_mul_f64 v[6:7], v[138:139], v[70:71]
	v_mul_f64 v[8:9], v[134:135], v[64:65]
	v_mul_f64 v[10:11], v[138:139], v[68:69]
	v_mul_f64 v[12:13], v[126:127], v[62:63]
	v_mul_f64 v[14:15], v[130:131], v[78:79]
	v_mul_f64 v[16:17], v[126:127], v[60:61]
	v_mul_f64 v[22:23], v[118:119], v[58:59]
	v_mul_f64 v[32:33], v[118:119], v[56:57]
	v_mul_f64 v[34:35], v[122:123], v[80:81]
	v_mul_f64 v[84:85], v[114:115], v[40:41]
	s_mov_b32 s22, 0xbb3a28a1
	s_mov_b32 s26, 0xfd768dbf
	;; [unrolled: 1-line block ×18, first 2 shown]
	v_fma_f64 v[54:55], v[72:73], v[54:55], -v[0:1]
	v_fma_f64 v[72:73], v[72:73], v[52:53], v[2:3]
	v_fma_f64 v[2:3], v[128:129], v[78:79], -v[20:21]
	v_fma_f64 v[52:53], v[120:121], v[80:81], v[24:25]
	v_fma_f64 v[20:21], v[104:105], v[48:49], v[26:27]
	;; [unrolled: 1-line block ×3, first 2 shown]
	v_fma_f64 v[24:25], v[104:105], v[50:51], -v[74:75]
	v_fma_f64 v[36:37], v[108:109], v[36:37], v[30:31]
	v_fma_f64 v[38:39], v[108:109], v[38:39], -v[86:87]
	v_fma_f64 v[4:5], v[132:133], v[64:65], v[4:5]
	v_fma_f64 v[6:7], v[136:137], v[68:69], v[6:7]
	v_fma_f64 v[8:9], v[132:133], v[66:67], -v[8:9]
	v_fma_f64 v[10:11], v[136:137], v[70:71], -v[10:11]
	v_fma_f64 v[12:13], v[124:125], v[60:61], v[12:13]
	v_fma_f64 v[0:1], v[128:129], v[76:77], v[14:15]
	v_fma_f64 v[14:15], v[124:125], v[62:63], -v[16:17]
	v_fma_f64 v[16:17], v[116:117], v[56:57], v[22:23]
	v_fma_f64 v[22:23], v[116:117], v[58:59], -v[32:33]
	v_fma_f64 v[48:49], v[120:121], v[82:83], -v[34:35]
	;; [unrolled: 1-line block ×3, first 2 shown]
	s_mov_b32 s30, s18
	s_mov_b32 s34, s26
	;; [unrolled: 1-line block ×8, first 2 shown]
	v_add_f64 v[26:27], v[46:47], v[54:55]
	v_add_f64 v[28:29], v[44:45], v[72:73]
	v_add_f64 v[50:51], v[20:21], -v[40:41]
	v_add_f64 v[56:57], v[72:73], -v[36:37]
	;; [unrolled: 1-line block ×3, first 2 shown]
	v_add_f64 v[54:55], v[54:55], v[38:39]
	v_add_f64 v[30:31], v[4:5], -v[6:7]
	v_add_f64 v[72:73], v[72:73], v[36:37]
	v_add_f64 v[58:59], v[8:9], -v[10:11]
	;; [unrolled: 2-line block ×3, first 2 shown]
	v_add_f64 v[60:61], v[14:15], -v[2:3]
	v_add_f64 v[34:35], v[16:17], -v[52:53]
	v_add_f64 v[80:81], v[16:17], v[52:53]
	v_add_f64 v[62:63], v[22:23], -v[48:49]
	v_add_f64 v[74:75], v[22:23], v[48:49]
	;; [unrolled: 2-line block ×3, first 2 shown]
	v_add_f64 v[78:79], v[12:13], v[0:1]
	v_add_f64 v[76:77], v[4:5], v[6:7]
	v_add_f64 v[26:27], v[26:27], v[24:25]
	v_add_f64 v[28:29], v[28:29], v[20:21]
	v_add_f64 v[24:25], v[24:25], v[42:43]
	v_add_f64 v[20:21], v[20:21], v[40:41]
	v_mul_f64 v[88:89], v[50:51], s[24:25]
	v_mul_f64 v[124:125], v[50:51], s[34:35]
	;; [unrolled: 1-line block ×14, first 2 shown]
	s_mov_b32 s21, 0xbfed1bb4
	v_mul_f64 v[98:99], v[64:65], s[24:25]
	v_mul_f64 v[156:157], v[66:67], s[20:21]
	;; [unrolled: 1-line block ×18, first 2 shown]
	v_add_f64 v[22:23], v[26:27], v[22:23]
	v_add_f64 v[16:17], v[28:29], v[16:17]
	v_mul_f64 v[28:29], v[56:57], s[22:23]
	v_mul_f64 v[56:57], v[56:57], s[20:21]
	;; [unrolled: 1-line block ×3, first 2 shown]
	v_fma_f64 v[160:161], v[24:25], s[12:13], v[88:89]
	v_fma_f64 v[88:89], v[24:25], s[12:13], -v[88:89]
	v_fma_f64 v[162:163], v[54:55], s[8:9], v[90:91]
	v_fma_f64 v[172:173], v[72:73], s[8:9], -v[100:101]
	v_fma_f64 v[176:177], v[72:73], s[10:11], -v[116:117]
	v_fma_f64 v[116:117], v[72:73], s[10:11], v[116:117]
	v_fma_f64 v[90:91], v[54:55], s[8:9], -v[90:91]
	v_fma_f64 v[100:101], v[72:73], s[8:9], v[100:101]
	v_fma_f64 v[178:179], v[54:55], s[14:15], v[126:127]
	v_fma_f64 v[180:181], v[72:73], s[14:15], -v[136:137]
	v_fma_f64 v[126:127], v[54:55], s[14:15], -v[126:127]
	v_fma_f64 v[136:137], v[72:73], s[14:15], v[136:137]
	v_fma_f64 v[182:183], v[54:55], s[12:13], v[154:155]
	v_fma_f64 v[154:155], v[54:55], s[12:13], -v[154:155]
	v_mul_f64 v[140:141], v[32:33], s[30:31]
	v_fma_f64 v[170:171], v[20:21], s[12:13], -v[98:99]
	v_fma_f64 v[186:187], v[72:73], s[0:1], v[156:157]
	v_fma_f64 v[98:99], v[20:21], s[12:13], v[98:99]
	v_mul_f64 v[148:149], v[60:61], s[30:31]
	v_fma_f64 v[188:189], v[20:21], s[8:9], -v[134:135]
	v_fma_f64 v[134:135], v[20:21], s[8:9], v[134:135]
	v_fma_f64 v[190:191], v[24:25], s[10:11], v[144:145]
	v_fma_f64 v[192:193], v[20:21], s[10:11], -v[152:153]
	v_fma_f64 v[144:145], v[24:25], s[10:11], -v[144:145]
	v_fma_f64 v[152:153], v[20:21], s[10:11], v[152:153]
	v_mul_f64 v[32:33], v[32:33], s[22:23]
	v_fma_f64 v[158:159], v[74:75], s[10:11], v[86:87]
	v_fma_f64 v[168:169], v[80:81], s[10:11], -v[96:97]
	v_fma_f64 v[86:87], v[74:75], s[10:11], -v[86:87]
	v_fma_f64 v[96:97], v[80:81], s[10:11], v[96:97]
	v_fma_f64 v[198:199], v[74:75], s[14:15], v[34:35]
	v_fma_f64 v[200:201], v[80:81], s[14:15], -v[62:63]
	v_fma_f64 v[34:35], v[74:75], s[14:15], -v[34:35]
	v_add_f64 v[14:15], v[22:23], v[14:15]
	v_add_f64 v[12:13], v[16:17], v[12:13]
	v_mul_f64 v[16:17], v[50:51], s[20:21]
	v_mul_f64 v[22:23], v[64:65], s[20:21]
	v_fma_f64 v[174:175], v[54:55], s[10:11], v[28:29]
	v_fma_f64 v[28:29], v[54:55], s[10:11], -v[28:29]
	v_fma_f64 v[184:185], v[54:55], s[0:1], -v[56:57]
	v_fma_f64 v[54:55], v[54:55], s[0:1], v[56:57]
	v_fma_f64 v[56:57], v[72:73], s[0:1], -v[156:157]
	v_fma_f64 v[156:157], v[24:25], s[8:9], v[124:125]
	v_fma_f64 v[124:125], v[24:25], s[8:9], -v[124:125]
	v_add_f64 v[116:117], v[44:45], v[116:117]
	v_add_f64 v[90:91], v[46:47], v[90:91]
	;; [unrolled: 1-line block ×3, first 2 shown]
	v_fma_f64 v[62:63], v[80:81], s[14:15], v[62:63]
	v_add_f64 v[126:127], v[46:47], v[126:127]
	v_add_f64 v[136:137], v[44:45], v[136:137]
	v_mul_f64 v[130:131], v[60:61], s[28:29]
	v_add_f64 v[154:155], v[46:47], v[154:155]
	v_mul_f64 v[60:61], v[60:61], s[22:23]
	v_mul_f64 v[82:83], v[30:31], s[18:19]
	;; [unrolled: 1-line block ×9, first 2 shown]
	v_fma_f64 v[64:65], v[70:71], s[0:1], v[84:85]
	v_fma_f64 v[166:167], v[78:79], s[0:1], -v[94:95]
	v_fma_f64 v[84:85], v[70:71], s[0:1], -v[84:85]
	v_fma_f64 v[94:95], v[78:79], s[0:1], v[94:95]
	v_add_f64 v[8:9], v[14:15], v[8:9]
	v_add_f64 v[4:5], v[12:13], v[4:5]
	v_fma_f64 v[12:13], v[72:73], s[12:13], v[66:67]
	v_fma_f64 v[14:15], v[72:73], s[12:13], -v[66:67]
	v_fma_f64 v[66:67], v[24:25], s[14:15], v[26:27]
	v_fma_f64 v[72:73], v[20:21], s[14:15], -v[114:115]
	v_fma_f64 v[26:27], v[24:25], s[14:15], -v[26:27]
	v_fma_f64 v[114:115], v[20:21], s[14:15], v[114:115]
	v_fma_f64 v[194:195], v[24:25], s[0:1], v[16:17]
	v_fma_f64 v[196:197], v[20:21], s[0:1], -v[22:23]
	v_fma_f64 v[16:17], v[24:25], s[0:1], -v[16:17]
	v_fma_f64 v[20:21], v[20:21], s[0:1], v[22:23]
	v_add_f64 v[22:23], v[46:47], v[162:163]
	v_add_f64 v[24:25], v[44:45], v[172:173]
	v_add_f64 v[162:163], v[46:47], v[174:175]
	v_add_f64 v[172:173], v[44:45], v[176:177]
	v_add_f64 v[28:29], v[46:47], v[28:29]
	v_add_f64 v[174:175], v[46:47], v[178:179]
	v_add_f64 v[176:177], v[44:45], v[180:181]
	v_add_f64 v[178:179], v[46:47], v[182:183]
	v_add_f64 v[180:181], v[46:47], v[184:185]
	v_add_f64 v[182:183], v[44:45], v[186:187]
	v_add_f64 v[46:47], v[46:47], v[54:55]
	v_add_f64 v[54:55], v[44:45], v[56:57]
	v_fma_f64 v[56:57], v[80:81], s[12:13], v[112:113]
	v_fma_f64 v[184:185], v[74:75], s[8:9], v[142:143]
	v_fma_f64 v[186:187], v[80:81], s[8:9], -v[150:151]
	v_fma_f64 v[142:143], v[74:75], s[8:9], -v[142:143]
	v_fma_f64 v[150:151], v[80:81], s[8:9], v[150:151]
	v_fma_f64 v[50:51], v[68:69], s[14:15], v[82:83]
	v_fma_f64 v[164:165], v[76:77], s[14:15], -v[92:93]
	v_fma_f64 v[82:83], v[68:69], s[14:15], -v[82:83]
	v_fma_f64 v[92:93], v[76:77], s[14:15], v[92:93]
	v_add_f64 v[8:9], v[8:9], v[10:11]
	v_add_f64 v[4:5], v[4:5], v[6:7]
	;; [unrolled: 1-line block ×4, first 2 shown]
	v_fma_f64 v[12:13], v[74:75], s[12:13], v[106:107]
	v_fma_f64 v[14:15], v[80:81], s[12:13], -v[112:113]
	v_fma_f64 v[44:45], v[74:75], s[12:13], -v[106:107]
	v_fma_f64 v[106:107], v[74:75], s[0:1], v[122:123]
	v_fma_f64 v[112:113], v[80:81], s[0:1], -v[132:133]
	v_fma_f64 v[122:123], v[74:75], s[0:1], -v[122:123]
	v_fma_f64 v[132:133], v[80:81], s[0:1], v[132:133]
	v_add_f64 v[74:75], v[88:89], v[90:91]
	v_add_f64 v[22:23], v[160:161], v[22:23]
	;; [unrolled: 1-line block ×18, first 2 shown]
	v_fma_f64 v[134:135], v[70:71], s[14:15], v[140:141]
	v_fma_f64 v[136:137], v[78:79], s[14:15], -v[148:149]
	v_fma_f64 v[140:141], v[70:71], s[14:15], -v[140:141]
	v_fma_f64 v[144:145], v[78:79], s[14:15], v[148:149]
	v_fma_f64 v[148:149], v[70:71], s[10:11], v[32:33]
	v_fma_f64 v[32:33], v[70:71], s[10:11], -v[32:33]
	v_fma_f64 v[126:127], v[78:79], s[12:13], -v[130:131]
	v_fma_f64 v[130:131], v[78:79], s[12:13], v[130:131]
	v_fma_f64 v[152:153], v[78:79], s[10:11], -v[60:61]
	v_add_f64 v[2:3], v[8:9], v[2:3]
	v_add_f64 v[0:1], v[4:5], v[0:1]
	;; [unrolled: 1-line block ×4, first 2 shown]
	v_fma_f64 v[8:9], v[70:71], s[8:9], v[104:105]
	v_fma_f64 v[10:11], v[78:79], s[8:9], -v[110:111]
	v_fma_f64 v[20:21], v[70:71], s[8:9], -v[104:105]
	v_fma_f64 v[104:105], v[78:79], s[8:9], v[110:111]
	v_fma_f64 v[110:111], v[70:71], s[12:13], v[120:121]
	v_fma_f64 v[120:121], v[70:71], s[12:13], -v[120:121]
	v_fma_f64 v[60:61], v[78:79], s[10:11], v[60:61]
	v_add_f64 v[70:71], v[86:87], v[74:75]
	v_add_f64 v[22:23], v[158:159], v[22:23]
	;; [unrolled: 1-line block ×18, first 2 shown]
	v_fma_f64 v[86:87], v[76:77], s[0:1], v[108:109]
	v_fma_f64 v[88:89], v[68:69], s[10:11], v[118:119]
	v_fma_f64 v[96:97], v[68:69], s[10:11], -v[118:119]
	v_fma_f64 v[100:101], v[68:69], s[12:13], v[138:139]
	v_fma_f64 v[106:107], v[68:69], s[12:13], -v[138:139]
	;; [unrolled: 2-line block ×3, first 2 shown]
	v_fma_f64 v[30:31], v[68:69], s[8:9], -v[30:31]
	v_fma_f64 v[98:99], v[76:77], s[10:11], v[128:129]
	v_add_f64 v[2:3], v[2:3], v[48:49]
	v_add_f64 v[0:1], v[0:1], v[52:53]
	;; [unrolled: 1-line block ×4, first 2 shown]
	v_fma_f64 v[48:49], v[68:69], s[0:1], v[102:103]
	v_fma_f64 v[52:53], v[76:77], s[0:1], -v[108:109]
	v_fma_f64 v[62:63], v[68:69], s[0:1], -v[102:103]
	v_fma_f64 v[68:69], v[76:77], s[8:9], v[58:59]
	v_fma_f64 v[108:109], v[76:77], s[12:13], v[146:147]
	v_fma_f64 v[90:91], v[76:77], s[10:11], -v[128:129]
	v_fma_f64 v[102:103], v[76:77], s[12:13], -v[146:147]
	v_add_f64 v[58:59], v[84:85], v[70:71]
	v_add_f64 v[22:23], v[64:65], v[22:23]
	;; [unrolled: 1-line block ×44, first 2 shown]
	ds_store_b128 v19, v[12:15] offset:6336
	ds_store_b128 v19, v[4:7] offset:7920
	;; [unrolled: 1-line block ×8, first 2 shown]
	ds_store_b128 v19, v[36:39]
	ds_store_b128 v19, v[52:55] offset:1584
	ds_store_b128 v19, v[48:51] offset:15840
.LBB0_17:
	s_or_b32 exec_lo, exec_lo, s16
	s_waitcnt lgkmcnt(0)
	s_barrier
	buffer_gl0_inv
	ds_load_b128 v[0:3], v19
	ds_load_b128 v[4:7], v19 offset:5808
	scratch_load_b64 v[8:9], off, off       ; 8-byte Folded Reload
	v_mad_u64_u32 v[20:21], null, s4, v18, 0
	s_mul_i32 s0, s5, 0x16b0
	s_mul_hi_u32 s1, s4, 0x16b0
	s_waitcnt vmcnt(0)
	v_mov_b32_e32 v23, v8
	ds_load_b128 v[8:11], v19 offset:11616
	ds_load_b128 v[12:15], v19 offset:1936
	;; [unrolled: 1-line block ×7, first 2 shown]
	s_clause 0x2
	scratch_load_b128 v[80:83], off, off offset:8
	scratch_load_b128 v[88:91], off, off offset:56
	;; [unrolled: 1-line block ×3, first 2 shown]
	v_mad_u64_u32 v[16:17], null, s6, v23, 0
	v_mov_b32_e32 v19, v21
	scratch_load_b128 v[96:99], off, off offset:88 ; 16-byte Folded Reload
	s_mul_i32 s6, s4, 0x16b0
	scratch_load_b128 v[92:95], off, off offset:72 ; 16-byte Folded Reload
	v_mad_u64_u32 v[26:27], null, s5, v18, v[19:20]
	v_mad_u64_u32 v[21:22], null, s7, v23, v[17:18]
	s_delay_alu instid0(VALU_DEP_1) | instskip(NEXT) | instid1(VALU_DEP_3)
	v_mov_b32_e32 v17, v21
	v_mov_b32_e32 v21, v26
	s_delay_alu instid0(VALU_DEP_2) | instskip(NEXT) | instid1(VALU_DEP_2)
	v_lshlrev_b64 v[16:17], 4, v[16:17]
	v_lshlrev_b64 v[20:21], 4, v[20:21]
	s_delay_alu instid0(VALU_DEP_2) | instskip(NEXT) | instid1(VALU_DEP_3)
	v_add_co_u32 v16, vcc_lo, s2, v16
	v_add_co_ci_u32_e32 v17, vcc_lo, s3, v17, vcc_lo
	s_add_i32 s2, s1, s0
	s_delay_alu instid0(VALU_DEP_2) | instskip(NEXT) | instid1(VALU_DEP_2)
	v_add_co_u32 v78, vcc_lo, v16, v20
	v_add_co_ci_u32_e32 v79, vcc_lo, v17, v21, vcc_lo
	s_mul_i32 s0, s5, 0xffffda30
	s_delay_alu instid0(SALU_CYCLE_1)
	s_sub_i32 s3, s0, s4
	s_mov_b32 s0, 0xa3611655
	s_mov_b32 s1, 0x3f4e1709
	s_waitcnt vmcnt(4) lgkmcnt(8)
	v_mul_f64 v[22:23], v[82:83], v[2:3]
	v_mul_f64 v[24:25], v[82:83], v[0:1]
	scratch_load_b128 v[82:85], off, off offset:24 ; 16-byte Folded Reload
	s_waitcnt vmcnt(3) lgkmcnt(7)
	v_mul_f64 v[18:19], v[102:103], v[6:7]
	v_mul_f64 v[27:28], v[102:103], v[4:5]
	scratch_load_b128 v[102:105], off, off offset:120 ; 16-byte Folded Reload
	s_waitcnt lgkmcnt(3)
	v_mul_f64 v[62:63], v[90:91], v[42:43]
	v_mul_f64 v[64:65], v[90:91], v[40:41]
	s_waitcnt vmcnt(2)
	v_mul_f64 v[58:59], v[94:95], v[38:39]
	v_mul_f64 v[60:61], v[94:95], v[36:37]
	v_fma_f64 v[0:1], v[80:81], v[0:1], v[22:23]
	v_fma_f64 v[2:3], v[80:81], v[2:3], -v[24:25]
	v_fma_f64 v[4:5], v[100:101], v[4:5], v[18:19]
	v_fma_f64 v[6:7], v[100:101], v[6:7], -v[27:28]
	;; [unrolled: 2-line block ×4, first 2 shown]
	v_add_co_u32 v36, vcc_lo, v78, s6
	v_add_co_ci_u32_e32 v37, vcc_lo, s2, v79, vcc_lo
	s_delay_alu instid0(VALU_DEP_2) | instskip(NEXT) | instid1(VALU_DEP_2)
	v_add_co_u32 v38, vcc_lo, v36, s6
	v_add_co_ci_u32_e32 v39, vcc_lo, s2, v37, vcc_lo
	s_delay_alu instid0(VALU_DEP_1) | instskip(NEXT) | instid1(VALU_DEP_1)
	v_mad_u64_u32 v[40:41], null, 0xffffda30, s4, v[38:39]
	v_add_nc_u32_e32 v41, s3, v41
	s_delay_alu instid0(VALU_DEP_2) | instskip(NEXT) | instid1(VALU_DEP_2)
	v_add_co_u32 v42, vcc_lo, v40, s6
	v_add_co_ci_u32_e32 v43, vcc_lo, s2, v41, vcc_lo
	v_mul_f64 v[0:1], v[0:1], s[0:1]
	v_mul_f64 v[2:3], v[2:3], s[0:1]
	v_mul_f64 v[4:5], v[4:5], s[0:1]
	v_mul_f64 v[6:7], v[6:7], s[0:1]
	v_mul_f64 v[20:21], v[20:21], s[0:1]
	v_mul_f64 v[22:23], v[22:23], s[0:1]
	v_mul_f64 v[16:17], v[16:17], s[0:1]
	v_mul_f64 v[18:19], v[18:19], s[0:1]
	s_waitcnt vmcnt(1)
	v_mul_f64 v[33:34], v[84:85], v[14:15]
	v_mul_f64 v[56:57], v[84:85], v[12:13]
	scratch_load_b128 v[84:87], off, off offset:40 ; 16-byte Folded Reload
	s_waitcnt vmcnt(1) lgkmcnt(1)
	v_mul_f64 v[70:71], v[104:105], v[50:51]
	v_mul_f64 v[72:73], v[104:105], v[48:49]
	scratch_load_b128 v[104:107], off, off offset:136 ; 16-byte Folded Reload
	v_mul_f64 v[29:30], v[98:99], v[10:11]
	v_mul_f64 v[31:32], v[98:99], v[8:9]
	v_fma_f64 v[12:13], v[82:83], v[12:13], v[33:34]
	v_fma_f64 v[14:15], v[82:83], v[14:15], -v[56:57]
	s_delay_alu instid0(VALU_DEP_4) | instskip(NEXT) | instid1(VALU_DEP_4)
	v_fma_f64 v[8:9], v[96:97], v[8:9], v[29:30]
	v_fma_f64 v[10:11], v[96:97], v[10:11], -v[31:32]
	v_fma_f64 v[28:29], v[102:103], v[48:49], v[70:71]
	v_fma_f64 v[30:31], v[102:103], v[50:51], -v[72:73]
	v_mul_f64 v[12:13], v[12:13], s[0:1]
	v_mul_f64 v[14:15], v[14:15], s[0:1]
	;; [unrolled: 1-line block ×6, first 2 shown]
	s_waitcnt vmcnt(1)
	v_mul_f64 v[66:67], v[86:87], v[46:47]
	v_mul_f64 v[68:69], v[86:87], v[44:45]
	s_waitcnt vmcnt(0) lgkmcnt(0)
	v_mul_f64 v[74:75], v[106:107], v[54:55]
	v_mul_f64 v[76:77], v[106:107], v[52:53]
	s_delay_alu instid0(VALU_DEP_4) | instskip(NEXT) | instid1(VALU_DEP_4)
	v_fma_f64 v[24:25], v[84:85], v[44:45], v[66:67]
	v_fma_f64 v[26:27], v[84:85], v[46:47], -v[68:69]
	v_add_co_u32 v44, vcc_lo, v42, s6
	v_fma_f64 v[32:33], v[104:105], v[52:53], v[74:75]
	v_fma_f64 v[34:35], v[104:105], v[54:55], -v[76:77]
	v_add_co_ci_u32_e32 v45, vcc_lo, s2, v43, vcc_lo
	s_delay_alu instid0(VALU_DEP_1) | instskip(NEXT) | instid1(VALU_DEP_1)
	v_mad_u64_u32 v[46:47], null, 0xffffda30, s4, v[44:45]
	v_add_nc_u32_e32 v47, s3, v47
	s_delay_alu instid0(VALU_DEP_2) | instskip(NEXT) | instid1(VALU_DEP_2)
	v_add_co_u32 v48, vcc_lo, v46, s6
	v_add_co_ci_u32_e32 v49, vcc_lo, s2, v47, vcc_lo
	s_delay_alu instid0(VALU_DEP_2) | instskip(NEXT) | instid1(VALU_DEP_2)
	v_add_co_u32 v50, vcc_lo, v48, s6
	v_add_co_ci_u32_e32 v51, vcc_lo, s2, v49, vcc_lo
	v_mul_f64 v[24:25], v[24:25], s[0:1]
	v_mul_f64 v[26:27], v[26:27], s[0:1]
	;; [unrolled: 1-line block ×4, first 2 shown]
	s_clause 0x4
	global_store_b128 v[78:79], v[0:3], off
	global_store_b128 v[36:37], v[4:7], off
	global_store_b128 v[38:39], v[8:11], off
	global_store_b128 v[40:41], v[12:15], off
	global_store_b128 v[42:43], v[16:19], off
	global_store_b128 v[44:45], v[20:23], off
	global_store_b128 v[46:47], v[24:27], off
	global_store_b128 v[48:49], v[28:31], off
	global_store_b128 v[50:51], v[32:35], off
.LBB0_18:
	s_nop 0
	s_sendmsg sendmsg(MSG_DEALLOC_VGPRS)
	s_endpgm
	.section	.rodata,"a",@progbits
	.p2align	6, 0x0
	.amdhsa_kernel bluestein_single_back_len1089_dim1_dp_op_CI_CI
		.amdhsa_group_segment_fixed_size 17424
		.amdhsa_private_segment_fixed_size 236
		.amdhsa_kernarg_size 104
		.amdhsa_user_sgpr_count 15
		.amdhsa_user_sgpr_dispatch_ptr 0
		.amdhsa_user_sgpr_queue_ptr 0
		.amdhsa_user_sgpr_kernarg_segment_ptr 1
		.amdhsa_user_sgpr_dispatch_id 0
		.amdhsa_user_sgpr_private_segment_size 0
		.amdhsa_wavefront_size32 1
		.amdhsa_uses_dynamic_stack 0
		.amdhsa_enable_private_segment 1
		.amdhsa_system_sgpr_workgroup_id_x 1
		.amdhsa_system_sgpr_workgroup_id_y 0
		.amdhsa_system_sgpr_workgroup_id_z 0
		.amdhsa_system_sgpr_workgroup_info 0
		.amdhsa_system_vgpr_workitem_id 0
		.amdhsa_next_free_vgpr 256
		.amdhsa_next_free_sgpr 42
		.amdhsa_reserve_vcc 1
		.amdhsa_float_round_mode_32 0
		.amdhsa_float_round_mode_16_64 0
		.amdhsa_float_denorm_mode_32 3
		.amdhsa_float_denorm_mode_16_64 3
		.amdhsa_dx10_clamp 1
		.amdhsa_ieee_mode 1
		.amdhsa_fp16_overflow 0
		.amdhsa_workgroup_processor_mode 1
		.amdhsa_memory_ordered 1
		.amdhsa_forward_progress 0
		.amdhsa_shared_vgpr_count 0
		.amdhsa_exception_fp_ieee_invalid_op 0
		.amdhsa_exception_fp_denorm_src 0
		.amdhsa_exception_fp_ieee_div_zero 0
		.amdhsa_exception_fp_ieee_overflow 0
		.amdhsa_exception_fp_ieee_underflow 0
		.amdhsa_exception_fp_ieee_inexact 0
		.amdhsa_exception_int_div_zero 0
	.end_amdhsa_kernel
	.text
.Lfunc_end0:
	.size	bluestein_single_back_len1089_dim1_dp_op_CI_CI, .Lfunc_end0-bluestein_single_back_len1089_dim1_dp_op_CI_CI
                                        ; -- End function
	.section	.AMDGPU.csdata,"",@progbits
; Kernel info:
; codeLenInByte = 20028
; NumSgprs: 44
; NumVgprs: 256
; ScratchSize: 236
; MemoryBound: 0
; FloatMode: 240
; IeeeMode: 1
; LDSByteSize: 17424 bytes/workgroup (compile time only)
; SGPRBlocks: 5
; VGPRBlocks: 31
; NumSGPRsForWavesPerEU: 44
; NumVGPRsForWavesPerEU: 256
; Occupancy: 5
; WaveLimiterHint : 1
; COMPUTE_PGM_RSRC2:SCRATCH_EN: 1
; COMPUTE_PGM_RSRC2:USER_SGPR: 15
; COMPUTE_PGM_RSRC2:TRAP_HANDLER: 0
; COMPUTE_PGM_RSRC2:TGID_X_EN: 1
; COMPUTE_PGM_RSRC2:TGID_Y_EN: 0
; COMPUTE_PGM_RSRC2:TGID_Z_EN: 0
; COMPUTE_PGM_RSRC2:TIDIG_COMP_CNT: 0
	.text
	.p2alignl 7, 3214868480
	.fill 96, 4, 3214868480
	.type	__hip_cuid_1a11daa188e8adca,@object ; @__hip_cuid_1a11daa188e8adca
	.section	.bss,"aw",@nobits
	.globl	__hip_cuid_1a11daa188e8adca
__hip_cuid_1a11daa188e8adca:
	.byte	0                               ; 0x0
	.size	__hip_cuid_1a11daa188e8adca, 1

	.ident	"AMD clang version 19.0.0git (https://github.com/RadeonOpenCompute/llvm-project roc-6.4.0 25133 c7fe45cf4b819c5991fe208aaa96edf142730f1d)"
	.section	".note.GNU-stack","",@progbits
	.addrsig
	.addrsig_sym __hip_cuid_1a11daa188e8adca
	.amdgpu_metadata
---
amdhsa.kernels:
  - .args:
      - .actual_access:  read_only
        .address_space:  global
        .offset:         0
        .size:           8
        .value_kind:     global_buffer
      - .actual_access:  read_only
        .address_space:  global
        .offset:         8
        .size:           8
        .value_kind:     global_buffer
      - .actual_access:  read_only
        .address_space:  global
        .offset:         16
        .size:           8
        .value_kind:     global_buffer
      - .actual_access:  read_only
        .address_space:  global
        .offset:         24
        .size:           8
        .value_kind:     global_buffer
      - .actual_access:  read_only
        .address_space:  global
        .offset:         32
        .size:           8
        .value_kind:     global_buffer
      - .offset:         40
        .size:           8
        .value_kind:     by_value
      - .address_space:  global
        .offset:         48
        .size:           8
        .value_kind:     global_buffer
      - .address_space:  global
        .offset:         56
        .size:           8
        .value_kind:     global_buffer
      - .address_space:  global
        .offset:         64
        .size:           8
        .value_kind:     global_buffer
      - .address_space:  global
        .offset:         72
        .size:           8
        .value_kind:     global_buffer
      - .offset:         80
        .size:           4
        .value_kind:     by_value
      - .address_space:  global
        .offset:         88
        .size:           8
        .value_kind:     global_buffer
      - .address_space:  global
        .offset:         96
        .size:           8
        .value_kind:     global_buffer
    .group_segment_fixed_size: 17424
    .kernarg_segment_align: 8
    .kernarg_segment_size: 104
    .language:       OpenCL C
    .language_version:
      - 2
      - 0
    .max_flat_workgroup_size: 121
    .name:           bluestein_single_back_len1089_dim1_dp_op_CI_CI
    .private_segment_fixed_size: 236
    .sgpr_count:     44
    .sgpr_spill_count: 0
    .symbol:         bluestein_single_back_len1089_dim1_dp_op_CI_CI.kd
    .uniform_work_group_size: 1
    .uses_dynamic_stack: false
    .vgpr_count:     256
    .vgpr_spill_count: 58
    .wavefront_size: 32
    .workgroup_processor_mode: 1
amdhsa.target:   amdgcn-amd-amdhsa--gfx1100
amdhsa.version:
  - 1
  - 2
...

	.end_amdgpu_metadata
